;; amdgpu-corpus repo=ROCm/hipBLASLt kind=harvested arch=n/a opt=n/a

/******************************************/
/* Begin Kernel                           */
/******************************************/
.amdgcn_target "amdgcn-amd-amdhsa--gfx942"
.text
.protected Custom_Cijk_Ailk_Bljk_F8NH_HSS_BH_Bias_GG_AS_SAB_SAV_UserArgs_shortname20_gfx942
.globl Custom_Cijk_Ailk_Bljk_F8NH_HSS_BH_Bias_GG_AS_SAB_SAV_UserArgs_shortname20_gfx942
.p2align 8
.type Custom_Cijk_Ailk_Bljk_F8NH_HSS_BH_Bias_GG_AS_SAB_SAV_UserArgs_shortname20_gfx942,@function
.section .rodata,#alloc
.p2align 6
.amdhsa_kernel Custom_Cijk_Ailk_Bljk_F8NH_HSS_BH_Bias_GG_AS_SAB_SAV_UserArgs_shortname20_gfx942
  .amdhsa_user_sgpr_kernarg_segment_ptr 1
  .amdhsa_accum_offset 256 // accvgpr offset
  .amdhsa_next_free_vgpr 512 // vgprs
  .amdhsa_next_free_sgpr 102 // sgprs
  .amdhsa_group_segment_fixed_size 65536 // lds bytes
  .amdhsa_private_segment_fixed_size 0
  .amdhsa_system_sgpr_workgroup_id_x 1
  .amdhsa_system_sgpr_workgroup_id_y 1
  .amdhsa_system_sgpr_workgroup_id_z 1
  .amdhsa_system_vgpr_workitem_id 0
  .amdhsa_float_denorm_mode_32 3
  .amdhsa_float_denorm_mode_16_64 3
  .amdhsa_user_sgpr_count 13
  .amdhsa_user_sgpr_kernarg_preload_length 11
  .amdhsa_user_sgpr_kernarg_preload_offset 0
.end_amdhsa_kernel
.text
/* Num VGPR   =146 */
/* Num AccVGPR=384 */
/* Num SGPR   =78 */

/******************************************/
/* Optimizations and Config:              */
/******************************************/
/* ThreadTile= 32 x 12 */
/* SubGroup= 8 x 32 */
/* VectorWidthA=8 */
/* VectorWidthB=1 */
/* GlobalReadVectorWidthA=8, GlobalReadVectorWidthB=4 */
/* DirectToLdsA=False */
/* DirectToLdsB=False */
/* UseSgprForGRO=1 */
.amdgpu_metadata
---
custom.config:
   ProblemType:
      OperationType: GEMM
      DataTypeA: f8n
      DataTypeB: h
      UseScaleAB: "Scalar"
      DataType: h
      DestDataType: s
      ComputeDataType: s
      HighPrecisionAccumulate: True
      TransposeA: False
      TransposeB: False
      UseBias: 1
      Activation: True
      UseScaleAlphaVec: 1
      UseBeta: True
      Batched: True
      GroupedGemm:   True
      SupportUserArgs: True
   EnableF32XdlMathOp: False
   EnableMatrixInstruction: True
   MFMA_BF16_1K: False
   MIBlock: [16, 16, 16, 1, 1, 1]
   MIInputPerThread: 4
   MIInputPerThreadA: 4
   MIInputPerThreadB: 4
   MIInputPerThreadMetadata: 4
   MIWaveGroup: [2, 2]
   MIWaveTile: [8, 12]
   MatrixInstB: 1
   MatrixInstBM: 1
   MatrixInstBN: 1
   MatrixInstK: 16
   MatrixInstM: 16
   MatrixInstN: 16
   MatrixInstruction: [16, 16, 16, 1]
   Sparse: 0
   ThreadTile: [1, 1]
   WavefrontSize: 64
   WorkGroup: [32, 8, 1]
   1LDSBuffer: 1
   ScheduleIterAlg: 3
   DepthU: 32
   StaggerU: 0
   WorkGroupMapping: 1
   WaveSeparateGlobalReadA: 1
   WaveSeparateGlobalReadB: 1
   GlobalReadVectorWidthA: 8
   GlobalReadVectorWidthB: 4
   AssertFree0ElementMultiple: 8
   AssertSummationElementMultiple: 1
   InternalSupportParams:
      KernArgsVersion: 0
      SupportUserGSU: False
      SupportCustomWGM: False
      SupportCustomStaggerU: False
      UseUniversalArgs: False
amdhsa.version:
  - 1
  - 1
amdhsa.kernels:
  - .name: Custom_Cijk_Ailk_Bljk_F8NH_HSS_BH_Bias_GG_AS_SAB_SAV_UserArgs_shortname20_gfx942
    .symbol: 'Custom_Cijk_Ailk_Bljk_F8NH_HSS_BH_Bias_GG_AS_SAB_SAV_UserArgs_shortname20_gfx942.kd'
    .language:                   OpenCL C
    .language_version:
      - 2
      - 0
    .args:
      - .name:            SizesFree0
        .size:            4
        .offset:          0
        .value_kind:      by_value
        .value_type:      u32
      - .name:            SizesFree1
        .size:            4
        .offset:          4
        .value_kind:      by_value
        .value_type:      u32
      - .name:            SizesFree2
        .size:            4
        .offset:          8
        .value_kind:      by_value
        .value_type:      u32
      - .name:            SizesSum0
        .size:            4
        .offset:          12
        .value_kind:      by_value
        .value_type:      u32
      - .name:            D
        .size:            8
        .offset:          16
        .value_kind:      global_buffer
        .value_type:      f16
        .address_space:   generic
      - .name:            C
        .size:            8
        .offset:          24
        .value_kind:      global_buffer
        .value_type:      f16
        .address_space:   generic
      - .name:            A
        .size:            8
        .offset:          32
        .value_kind:      global_buffer
        .value_type:      f16
        .address_space:   generic
      - .name:            B
        .size:            8
        .offset:          40
        .value_kind:      global_buffer
        .value_type:      f16
        .address_space:   generic
      - .name:            strideD0
        .size:            4
        .offset:          48
        .value_kind:      by_value
        .value_type:      u32
      - .name:            strideD1
        .size:            4
        .offset:          52
        .value_kind:      by_value
        .value_type:      u32
      - .name:            strideC0
        .size:            4
        .offset:          56
        .value_kind:      by_value
        .value_type:      u32
      - .name:            strideC1
        .size:            4
        .offset:          60
        .value_kind:      by_value
        .value_type:      u32
      - .name:            strideA0
        .size:            4
        .offset:          64
        .value_kind:      by_value
        .value_type:      u32
      - .name:            strideA1
        .size:            4
        .offset:          68
        .value_kind:      by_value
        .value_type:      u32
      - .name:            strideB0
        .size:            4
        .offset:          72
        .value_kind:      by_value
        .value_type:      u32
      - .name:            strideB1
        .size:            4
        .offset:          76
        .value_kind:      by_value
        .value_type:      u32
      - .name:            alpha
        .size:            4
        .offset:          80
        .value_kind:      by_value
        .value_type:      f32
      - .name:            beta
        .size:            4
        .offset:          84
        .value_kind:      by_value
        .value_type:      f32
      - .name:            AddressScaleA
        .size:            8
        .offset:          88
        .value_kind:      global_buffer
        .value_type:      f32
        .address_space:   generic
      - .name:            AddressScaleB
        .size:            8
        .offset:          96
        .value_kind:      global_buffer
        .value_type:      f32
        .address_space:   generic
      - .name:            AddressScaleAlphaVec
        .size:            8
        .offset:          104
        .value_kind:      global_buffer
        .value_type:      f32
        .address_space:   generic
      - .name:            bias
        .size:            8
        .offset:          112
        .value_kind:      global_buffer
        .value_type:      void
        .address_space:   generic
      - .name:            biasType
        .size:            4
        .offset:          120
        .value_kind:      by_value
        .value_type:      u32
      - .name:            StrideBias
        .size:            4
        .offset:          124
        .value_kind:      by_value
        .value_type:      u32
      - .name:            activationAlpha
        .size:            4
        .offset:          128
        .value_kind:      by_value
        .value_type:      f32
      - .name:            activationBeta
        .size:            4
        .offset:          132
        .value_kind:      by_value
        .value_type:      f32
      - .name:            activationType
        .size:            4
        .offset:          136
        .value_kind:      by_value
        .value_type:      u32
    .group_segment_fixed_size:   42496
    .kernarg_segment_align:      8
    .kernarg_segment_size:       144
    .max_flat_workgroup_size:    256
    .private_segment_fixed_size: 0
    .sgpr_count:                 78
    .sgpr_spill_count:           0
    .vgpr_count:                 146
    .vgpr_spill_count:           0
    .wavefront_size:             64
...
.end_amdgpu_metadata
Custom_Cijk_Ailk_Bljk_F8NH_HSS_BH_Bias_GG_AS_SAB_SAV_UserArgs_shortname20_gfx942:
.long 0xC00206C0, 0x00000000
.long 0xC0020A80, 0x00000018
	;; [unrolled: 1-line block ×4, first 2 shown]
.long 0xBF8CC07F
.long 0xBF82003D
	;; [unrolled: 1-line block ×63, first 2 shown]
.long 0xBEB800FF, 0x05040100
.long 0xBEB900FF, 0x07060302
	;; [unrolled: 1-line block ×3, first 2 shown]
.long 0x7EFE0300
.long 0xBE82000D
	;; [unrolled: 1-line block ×6, first 2 shown]
.long 0xBE9A00FF, 0x0000008C
.long 0x9216841B
.long 0xBE900100
.long 0xBF820004
.long 0xBE9A00FF, 0x000000C4
.long 0xBE960080
.long 0xBE900106
.long 0xBE980081
.long 0xBE970080
.long 0xC0080308, 0x00000016
.long 0xB41B0001
	;; [unrolled: 5-line block ×3, first 2 shown]
.long 0xBE930080
.long 0x92120DFF, 0x00000155
.long 0x8E929012
.long 0x9215FF0D, 0x00005556
.long 0x80121215
.long 0x82138013
	;; [unrolled: 1-line block ×3, first 2 shown]
.long 0x9213FF12, 0x00000180
.long 0xBF070D13
.long 0x82158012
	;; [unrolled: 1-line block ×9, first 2 shown]
.long 0xC0080308, 0x00000016
.long 0x80188118
.long 0xBF0A1B18
	;; [unrolled: 1-line block ×5, first 2 shown]
.long 0x86120CFF, 0x000000FF
.long 0x82148014
.long 0xBE930080
.long 0x92120DFF, 0x00000155
.long 0x8E929012
.long 0x9215FF0D, 0x00005556
.long 0x80121215
.long 0x82138013
	;; [unrolled: 1-line block ×3, first 2 shown]
.long 0x9213FF12, 0x00000180
.long 0xBF070D13
.long 0x82158012
	;; [unrolled: 1-line block ×13, first 2 shown]
.long 0x920BFF0B, 0x0000008C
.long 0x80000B00
.long 0x82018001
.long 0xC0120500, 0x00000000
.long 0xC00A0900, 0x00000040
	;; [unrolled: 1-line block ×3, first 2 shown]
.long 0xBF82000C
.long 0x920BFF0B, 0x000000C4
.long 0x80060B06
.long 0x82078007
.long 0xC0120503, 0x00000000
.long 0xC00A0903, 0x00000040
	;; [unrolled: 1-line block ×4, first 2 shown]
.long 0x2602FEBF
.long 0x2600028F
	;; [unrolled: 1-line block ×31, first 2 shown]
.long 0xBE8B00FF, 0x00000100
.long 0xD2850002, 0x0002040B
	;; [unrolled: 1-line block ×3, first 2 shown]
.long 0x2000FE88
.long 0xBE8B00FF, 0x00000180
.long 0xD2850000, 0x0002000B
	;; [unrolled: 1-line block ×3, first 2 shown]
.long 0x2004EA87
.long 0x24040483
.long 0x68EAEB02
.long 0x32EAEAFF, 0x00004000
.long 0x2608FEBF
.long 0x20020885
	;; [unrolled: 1-line block ×13, first 2 shown]
.long 0x920BFF0B, 0x00000060
.long 0x6804040B
.long 0x24060682
.long 0x10A002FF, 0x00000100
.long 0xD1FE0050, 0x0206A100
.long 0x10A204A0
.long 0xD1FE0051, 0x0206A303
.long 0x2008A287
.long 0x24080883
	;; [unrolled: 1-line block ×3, first 2 shown]
.long 0x32A2A2FF, 0x00004000
.long 0xBF8CC07F
.long 0x7E0C02FF, 0x00000100
.long 0x7E0A0214
.long 0x7E080D06
	;; [unrolled: 1-line block ×8, first 2 shown]
.long 0xD0CD006A, 0x00010107
.long 0xD11C6A04, 0x01A90104
	;; [unrolled: 1-line block ×3, first 2 shown]
.long 0x7E0A0215
.long 0x7E120504
	;; [unrolled: 1-line block ×9, first 2 shown]
.long 0xD0CD006A, 0x00010107
.long 0xD11C6A04, 0x01A90104
.long 0xBF800000
.long 0x7E140504
	;; [unrolled: 1-line block ×12, first 2 shown]
.long 0xD1080005, 0x00009104
.long 0x6A0A0A02
.long 0xD0DA007E, 0x00009105
.long 0x68080881
.long 0xBEFE01C1
.long 0x7E900504
.long 0xBE840048
.long 0x9248090A
.long 0x92480448
.long 0x92482A48
.long 0x80824802
.long 0x7E080C09
.long 0x7E084704
.long 0x7E0A0C02
.long 0x0A080B04
.long 0x7E080F04
.long 0xD1080005, 0x00001304
.long 0x6A0A0A02
.long 0xD0DA007E, 0x00001305
.long 0x68080881
.long 0xBEFE01C1
	;; [unrolled: 1-line block ×9, first 2 shown]
.long 0xD042006A, 0x00010028
.long 0xBF860001
.long 0xBE970080
.long 0x9248FF03, 0x00000180
.long 0x8048FF48, 0x00000140
.long 0xBF091548
.long 0xBF840006
	;; [unrolled: 1-line block ×3, first 2 shown]
.long 0x814A84FF, 0x00018364
.long 0x80484A48
.long 0x82498049
	;; [unrolled: 1-line block ×3, first 2 shown]
.long 0x9248FF03, 0x00000180
.long 0x8048FF48, 0x00000160
.long 0xBF091548
.long 0xBF840006
	;; [unrolled: 1-line block ×3, first 2 shown]
.long 0x814A84FF, 0x0002C928
.long 0x80484A48
.long 0x82498049
	;; [unrolled: 1-line block ×7, first 2 shown]
.long 0xD2850004, 0x00020224
.long 0x32A40900
.long 0x68A4A488
	;; [unrolled: 1-line block ×5, first 2 shown]
.long 0xD2850004, 0x00020426
.long 0x32A60903
.long 0x68A6A684
	;; [unrolled: 1-line block ×19, first 2 shown]
.long 0x9245FF26, 0x00000048
.long 0x8E458145
.long 0x9246FF26, 0x00000050
.long 0x8E468146
	;; [unrolled: 2-line block ×3, first 2 shown]
.long 0x964BFF02, 0x00000100
.long 0x924AFF02, 0x00000100
.long 0xBECC0081
.long 0xBECD0080
	;; [unrolled: 1-line block ×24, first 2 shown]
.long 0xBEAF00FF, 0x00020000
.long 0x964BFF03, 0x00000180
	;; [unrolled: 1-line block ×3, first 2 shown]
.long 0x964B264A
.long 0x924A264A
	;; [unrolled: 1-line block ×28, first 2 shown]
.long 0xBEB300FF, 0x00020000
.long 0x9248A02A
.long 0x920B2448
	;; [unrolled: 1-line block ×8, first 2 shown]
.long 0xE0541000, 0x800B5452
.long 0xE0541000, 0x3A0B5652
	;; [unrolled: 1-line block ×16, first 2 shown]
.long 0x802C0B2C
.long 0x822D802D
	;; [unrolled: 1-line block ×14, first 2 shown]
.long 0xBE8E00FF, 0x80000000
.long 0xBE8F00FF, 0x00020000
.long 0xBE90001A
.long 0xBE91001B
.long 0xBE9200FF, 0x80000000
.long 0xBE9300FF, 0x00020000
	;; [unrolled: 1-line block ×3, first 2 shown]
.long 0x9649224A
.long 0x9248224A
	;; [unrolled: 1-line block ×20, first 2 shown]
.long 0xD3D94000, 0x18000080
.long 0xD3D94001, 0x18000080
	;; [unrolled: 1-line block ×256, first 2 shown]
.long 0x7F000280
.long 0x7F020280
	;; [unrolled: 1-line block ×131, first 2 shown]
.long 0x814A84FF, 0x00002124
.long 0x80484A48
.long 0x82498049
	;; [unrolled: 1-line block ×5, first 2 shown]
.long 0x7EF4ACF9, 0x0004067C
.long 0x7EEC14F9, 0x0006147A
.long 0x7EEC14F9, 0x0006157B
.long 0x7EF4ACF9, 0x0005067C
.long 0x7EEE14F9, 0x0006147A
.long 0x7EEE14F9, 0x0006157B
.long 0x7EF4ACF9, 0x0004067D
.long 0x7EF014F9, 0x0006147A
.long 0x7EF014F9, 0x0006157B
.long 0x7EF4ACF9, 0x0005067D
.long 0x7EF214F9, 0x0006147A
.long 0x7EF214F9, 0x0006157B
.long 0xD9BE0000, 0x00007650
.long 0x7EF87156
.long 0x7EF4ACF9, 0x0004067C
.long 0x7EEC14F9, 0x0006147A
.long 0x7EEC14F9, 0x0006157B
.long 0x7EF4ACF9, 0x0005067C
.long 0x7EEE14F9, 0x0006147A
.long 0x7EEE14F9, 0x0006157B
.long 0x7EF4ACF9, 0x0004067D
.long 0x7EF014F9, 0x0006147A
.long 0x7EF014F9, 0x0006157B
.long 0x7EF4ACF9, 0x0005067D
.long 0x7EF214F9, 0x0006147A
.long 0x7EF214F9, 0x0006157B
.long 0xD9BE0400, 0x00007650
.long 0x7EF87158
	;; [unrolled: 14-line block ×3, first 2 shown]
.long 0x7EF4ACF9, 0x0004067C
.long 0x7EEC14F9, 0x0006147A
	;; [unrolled: 1-line block ×25, first 2 shown]
.long 0xBF068105
.long 0xBF850020
.long 0xE0541000, 0x800B5452
.long 0xE0541000, 0x3A0B5652
	;; [unrolled: 1-line block ×16, first 2 shown]
.long 0xBF8CC07F
.long 0xBF8A0000
.long 0xD9FE0000, 0x00000074
.long 0xD9FE0200, 0x04000074
	;; [unrolled: 1-line block ×16, first 2 shown]
.long 0xBF8CCC7F
.long 0xD1ED0076, 0x00E60104
.long 0xD1ED0000, 0x00E20104
	;; [unrolled: 1-line block ×6, first 2 shown]
.long 0x7E020377
.long 0xD1ED0005, 0x00E2130D
.long 0xD1ED0077, 0x00E6130D
	;; [unrolled: 1-line block ×6, first 2 shown]
.long 0x7E040376
.long 0x7E0C0379
.long 0xD1ED000C, 0x00E20707
.long 0xD1ED000D, 0x00E2170F
	;; [unrolled: 1-line block ×3, first 2 shown]
.long 0x7E060378
.long 0x7E0E0377
.long 0xD1ED000F, 0x00E6170F
.long 0x7E16037A
.long 0xBF068105
	;; [unrolled: 1-line block ×6, first 2 shown]
.long 0xD3CD8000, 0x04020120
.long 0xD9FE2000, 0x10000074
.long 0x802C0B2C
.long 0xD3CD8004, 0x04120520
.long 0xD9FE2200, 0x14000074
.long 0x822D802D
	;; [unrolled: 3-line block ×12, first 2 shown]
.long 0xD3CD8030, 0x04C21122
.long 0xD8EC4420, 0x48000075
	;; [unrolled: 1-line block ×22, first 2 shown]
.long 0xBF8CC07F
.long 0xBF8A0000
.long 0xD3CD8078, 0x05E21926
.long 0xBF8C0F7F
.long 0x7EF87154
.long 0xE0541000, 0x800B5452
.long 0xD3CD807C, 0x05F21D26
.long 0x7EF4ACF9, 0x0004067C
.long 0x7EEC14F9, 0x0006147A
.long 0x7EEC14F9, 0x0006157B
.long 0xD3CD8080, 0x06020128
.long 0x7EF4ACF9, 0x0005067C
.long 0x7EEE14F9, 0x0006147A
.long 0x7EEE14F9, 0x0006157B
.long 0xD3CD8084, 0x06120528
.long 0x7EF4ACF9, 0x0004067D
.long 0x7EF014F9, 0x0006147A
.long 0x7EF014F9, 0x0006157B
.long 0xD3CD8088, 0x06220928
.long 0x7EF4ACF9, 0x0005067D
.long 0x7EF214F9, 0x0006147A
.long 0x7EF214F9, 0x0006157B
.long 0xD3CD808C, 0x06320D28
.long 0xD9BE0000, 0x00007650
.long 0xD3CD8090, 0x06421128
.long 0xD3CD8094, 0x06521528
.long 0xD3CD8098, 0x06621928
.long 0xD3CD809C, 0x06721D28
.long 0xBF8C0F7F
.long 0x7EF87156
.long 0xE0541000, 0x3A0B5652
.long 0xD3CD80A0, 0x0682012A
.long 0x7EF4ACF9, 0x0004067C
.long 0x7EEC14F9, 0x0006147A
.long 0x7EEC14F9, 0x0006157B
.long 0xD3CD80A4, 0x0692052A
.long 0x7EF4ACF9, 0x0005067C
.long 0x7EEE14F9, 0x0006147A
.long 0x7EEE14F9, 0x0006157B
.long 0xD3CD80A8, 0x06A2092A
.long 0x7EF4ACF9, 0x0004067D
.long 0x7EF014F9, 0x0006147A
.long 0x7EF014F9, 0x0006157B
.long 0xD3CD80AC, 0x06B20D2A
.long 0x7EF4ACF9, 0x0005067D
.long 0x7EF214F9, 0x0006147A
.long 0x7EF214F9, 0x0006157B
.long 0xD3CD80B0, 0x06C2112A
.long 0xD9BE0400, 0x00007650
.long 0xD3CD80B4, 0x06D2152A
.long 0xD3CD80B8, 0x06E2192A
.long 0xD3CD80BC, 0x06F21D2A
	;; [unrolled: 25-line block ×4, first 2 shown]
.long 0xD3CD0088, 0x06220930
.long 0xBF8C0F7F
.long 0xD89A0000, 0x00005C51
.long 0xD3CD008C, 0x06320D30
.long 0xE0541000, 0x800C5C53
.long 0xD3CD0090, 0x06421130
.long 0xD3CD0094, 0x06521530
.long 0xD3CD0098, 0x06621930
.long 0xD3CD009C, 0x06721D30
.long 0xD3CD00A0, 0x06820132
.long 0xD3CD00A4, 0x06920532
.long 0xD3CD00A8, 0x06A20932
.long 0xD3CD00AC, 0x06B20D32
.long 0xBF8C0F7F
.long 0xD89A0220, 0x00005E51
.long 0xD3CD00B0, 0x06C21132
.long 0xE0541000, 0x3D0C5E53
.long 0xD3CD00B4, 0x06D21532
.long 0xD3CD00B8, 0x06E21932
.long 0xD3CD00BC, 0x06F21D32
.long 0xD3CD00C0, 0x07020134
.long 0xD3CD00C4, 0x07120534
.long 0xD3CD00C8, 0x07220934
.long 0xD3CD00CC, 0x07320D34
	;; [unrolled: 12-line block ×3, first 2 shown]
.long 0xD1ED0014, 0x00E22315
.long 0xD1ED0079, 0x00E62315
.long 0x7E220377
.long 0xD3CD00E4, 0x07920536
.long 0xD1ED0015, 0x00E2331D
	;; [unrolled: 1-line block ×9, first 2 shown]
.long 0x7E240376
.long 0x7E2C0379
.long 0xD1ED001C, 0x00E22717
.long 0xD3CD00F0, 0x07C21136
	;; [unrolled: 1-line block ×4, first 2 shown]
.long 0x7E260378
.long 0xD3CD00F4, 0x07D21536
.long 0xBF8C0F7F
.long 0xD89A0660, 0x00006251
.long 0xD3CD00F8, 0x07E21936
	;; [unrolled: 1-line block ×4, first 2 shown]
.long 0x7E2E0377
.long 0xD1ED001F, 0x00E6371F
.long 0x7E36037A
.long 0xBF8CC87F
.long 0xD3CD8000, 0x04022138
.long 0xD3CD8004, 0x04122538
.long 0xD3CD8008, 0x04222938
.long 0xD3CD800C, 0x04322D38
.long 0xD3CD8010, 0x04423138
.long 0xD3CD8014, 0x04523538
.long 0xD3CD8018, 0x04623938
.long 0xBF8C0F7F
.long 0xD89A0880, 0x00006451
.long 0xD3CD801C, 0x04723D38
.long 0xE0541000, 0x400C6453
.long 0xD3CD8020, 0x0482213A
.long 0xD3CD8024, 0x0492253A
.long 0xD3CD8028, 0x04A2293A
.long 0xD3CD802C, 0x04B22D3A
.long 0xD3CD8030, 0x04C2313A
.long 0xD3CD8034, 0x04D2353A
.long 0xD3CD8038, 0x04E2393A
.long 0xD3CD803C, 0x04F23D3A
.long 0xBF8C0F7F
.long 0xD89A0AA0, 0x00006651
.long 0xD3CD8040, 0x0502213C
.long 0xE0541000, 0x410C6653
.long 0xD3CD8044, 0x0512253C
	;; [unrolled: 12-line block ×3, first 2 shown]
.long 0xD3CD806C, 0x05B22D3E
.long 0xD3CD8070, 0x05C2313E
.long 0xD3CD8074, 0x05D2353E
.long 0xD3CD8078, 0x05E2393E
.long 0xD3CD807C, 0x05F23D3E
.long 0xD3CD8080, 0x06022140
.long 0xD3CD8084, 0x06122540
.long 0xD3CD8088, 0x06222940
.long 0xBF8C0F7F
.long 0xD89A0EE0, 0x00006A51
.long 0xD3CD808C, 0x06322D40
.long 0xE0541000, 0x430C6A53
.long 0xD3CD8090, 0x06423140
.long 0xD3CD8094, 0x06523540
.long 0xD3CD8098, 0x06623940
.long 0xD3CD809C, 0x06723D40
.long 0xD3CD80A0, 0x06822142
.long 0xD3CD80A4, 0x06922542
.long 0xD3CD80A8, 0x06A22942
.long 0xD3CD80AC, 0x06B22D42
.long 0xBF8C0F7F
.long 0xD89A1100, 0x00006C51
.long 0xD3CD80B0, 0x06C23142
.long 0xE0541000, 0x440C6C53
.long 0xD3CD80B4, 0x06D23542
.long 0xD3CD80B8, 0x06E23942
.long 0xD3CD80BC, 0x06F23D42
.long 0xD3CD80C0, 0x07022144
.long 0xD3CD80C4, 0x07122544
.long 0xD3CD80C8, 0x07222944
.long 0xD3CD80CC, 0x07322D44
.long 0xD3CD80D0, 0x07423144
.long 0xBF8C0F7F
.long 0xD89A1320, 0x00006E51
.long 0xD3CD80D4, 0x07523544
.long 0xE0541000, 0x450C6E53
.long 0xD3CD80D8, 0x07623944
.long 0xD3CD80DC, 0x07723D44
.long 0xD3CD80E0, 0x07822146
.long 0xD3CD80E4, 0x07922546
.long 0xD3CD80E8, 0x07A22946
.long 0xD3CD80EC, 0x07B22D46
.long 0xD3CD80F0, 0x07C23146
.long 0xD3CD80F4, 0x07D23546
.long 0xBF8C0F7F
.long 0xD89A1540, 0x00007051
.long 0xD3CD80F8, 0x07E23946
.long 0xE0541000, 0x460C7053
.long 0xD3CD80FC, 0x07F23D46
.long 0xD3CD0080, 0x06022148
.long 0xD3CD0084, 0x06122548
.long 0xD3CD0088, 0x06222948
.long 0xD3CD008C, 0x06322D48
.long 0xD3CD0090, 0x06423148
.long 0xD3CD0094, 0x06523548
.long 0xD3CD0098, 0x06623948
.long 0xBF8C0F7F
.long 0xD89A1760, 0x00007251
.long 0xD3CD009C, 0x06723D48
.long 0xE0541000, 0x470C7253
.long 0xD3CD00A0, 0x0682214A
.long 0xD3CD00A4, 0x0692254A
.long 0xBF8CC07F
.long 0xBF8A0000
.long 0xD3CD00A8, 0x06A2294A
.long 0xD9FE0000, 0x00000074
	;; [unrolled: 1-line block ×30, first 2 shown]
.long 0xBF8CCC7F
.long 0xD1ED0076, 0x00E60104
.long 0xD3CD00E0, 0x0782214E
	;; [unrolled: 1-line block ×8, first 2 shown]
.long 0x7E020377
.long 0xD3CD00E8, 0x07A2294E
.long 0xD1ED0005, 0x00E2130D
	;; [unrolled: 1-line block ×9, first 2 shown]
.long 0x7E040376
.long 0x7E0C0379
.long 0xD1ED000C, 0x00E20707
.long 0xD3CD00F4, 0x07D2354E
	;; [unrolled: 1-line block ×4, first 2 shown]
.long 0x7E060378
.long 0xD3CD00F8, 0x07E2394E
.long 0x7E0E0377
.long 0xD1ED000F, 0x00E6170F
.long 0x7E16037A
.long 0xD3CD00FC, 0x07F23D4E
.long 0x80858105
.long 0xBF008205
	;; [unrolled: 1-line block ×4, first 2 shown]
.long 0xD3CD8000, 0x04020120
.long 0xD9FE2000, 0x10000074
.long 0x802C0B2C
.long 0xD3CD8004, 0x04120520
.long 0xD9FE2200, 0x14000074
.long 0x822D802D
	;; [unrolled: 3-line block ×12, first 2 shown]
.long 0xD3CD8030, 0x04C21122
.long 0xD8EC4420, 0x48000075
	;; [unrolled: 1-line block ×22, first 2 shown]
.long 0xBF8CC07F
.long 0xBF8A0000
.long 0xD3CD8078, 0x05E21926
.long 0xBF8C0F7F
.long 0x7EF87154
.long 0x7EF4ACF9, 0x0004067C
.long 0xD3CD807C, 0x05F21D26
.long 0x7EEC14F9, 0x0006147A
.long 0x7EEC14F9, 0x0006157B
.long 0x7EF4ACF9, 0x0005067C
.long 0xD3CD8080, 0x06020128
.long 0x7EEE14F9, 0x0006147A
.long 0x7EEE14F9, 0x0006157B
.long 0x7EF4ACF9, 0x0004067D
.long 0xD3CD8084, 0x06120528
.long 0x7EF014F9, 0x0006147A
.long 0x7EF014F9, 0x0006157B
.long 0x7EF4ACF9, 0x0005067D
.long 0xD3CD8088, 0x06220928
.long 0x7EF214F9, 0x0006147A
.long 0x7EF214F9, 0x0006157B
.long 0xD3CD808C, 0x06320D28
.long 0xD9BE0000, 0x00007650
.long 0xD3CD8090, 0x06421128
.long 0xD3CD8094, 0x06521528
.long 0xD3CD8098, 0x06621928
.long 0xD3CD809C, 0x06721D28
.long 0xBF8C0F7E
.long 0x7EF87156
.long 0x7EF4ACF9, 0x0004067C
.long 0xD3CD80A0, 0x0682012A
.long 0x7EEC14F9, 0x0006147A
.long 0x7EEC14F9, 0x0006157B
.long 0x7EF4ACF9, 0x0005067C
.long 0xD3CD80A4, 0x0692052A
.long 0x7EEE14F9, 0x0006147A
.long 0x7EEE14F9, 0x0006157B
.long 0x7EF4ACF9, 0x0004067D
.long 0xD3CD80A8, 0x06A2092A
.long 0x7EF014F9, 0x0006147A
.long 0x7EF014F9, 0x0006157B
.long 0x7EF4ACF9, 0x0005067D
.long 0xD3CD80AC, 0x06B20D2A
.long 0x7EF214F9, 0x0006147A
.long 0x7EF214F9, 0x0006157B
.long 0xD3CD80B0, 0x06C2112A
.long 0xD9BE0400, 0x00007650
.long 0xD3CD80B4, 0x06D2152A
.long 0xD3CD80B8, 0x06E2192A
.long 0xD3CD80BC, 0x06F21D2A
	;; [unrolled: 24-line block ×4, first 2 shown]
.long 0xD3CD0088, 0x06220930
.long 0xBF8C0F7B
.long 0xD89A0000, 0x00005C51
.long 0xD3CD008C, 0x06320D30
.long 0xD3CD0090, 0x06421130
.long 0xD3CD0094, 0x06521530
.long 0xD3CD0098, 0x06621930
.long 0xD3CD009C, 0x06721D30
.long 0xD3CD00A0, 0x06820132
.long 0xD3CD00A4, 0x06920532
.long 0xD3CD00A8, 0x06A20932
.long 0xD3CD00AC, 0x06B20D32
.long 0xBF8C0F7A
.long 0xD89A0220, 0x00005E51
.long 0xD3CD00B0, 0x06C21132
.long 0xD3CD00B4, 0x06D21532
.long 0xD3CD00B8, 0x06E21932
.long 0xD3CD00BC, 0x06F21D32
.long 0xD3CD00C0, 0x07020134
.long 0xD3CD00C4, 0x07120534
.long 0xD3CD00C8, 0x07220934
.long 0xD3CD00CC, 0x07320D34
	;; [unrolled: 11-line block ×3, first 2 shown]
.long 0xD3CD00E4, 0x07920536
.long 0xD1ED0014, 0x00E22315
.long 0xD1ED0079, 0x00E62315
.long 0x7E220377
.long 0xD3CD00E8, 0x07A20936
.long 0xD1ED0015, 0x00E2331D
	;; [unrolled: 1-line block ×9, first 2 shown]
.long 0x7E240376
.long 0x7E2C0379
.long 0xD1ED001C, 0x00E22717
.long 0xD3CD00F4, 0x07D21536
.long 0xBF8C0F78
.long 0xD89A0660, 0x00006251
.long 0xD3CD00F8, 0x07E21936
	;; [unrolled: 1-line block ×4, first 2 shown]
.long 0x7E260378
.long 0xD3CD00FC, 0x07F21D36
.long 0x7E2E0377
.long 0xD1ED001F, 0x00E6371F
	;; [unrolled: 2-line block ×3, first 2 shown]
.long 0xD3CD8004, 0x04122538
.long 0xD3CD8008, 0x04222938
.long 0xD3CD800C, 0x04322D38
.long 0xD3CD8010, 0x04423138
.long 0xD3CD8014, 0x04523538
.long 0xD3CD8018, 0x04623938
.long 0xBF8C0F77
.long 0xD89A0880, 0x00006451
.long 0xD3CD801C, 0x04723D38
.long 0xD3CD8020, 0x0482213A
.long 0xD3CD8024, 0x0492253A
.long 0xD3CD8028, 0x04A2293A
.long 0xD3CD802C, 0x04B22D3A
.long 0xD3CD8030, 0x04C2313A
.long 0xD3CD8034, 0x04D2353A
.long 0xD3CD8038, 0x04E2393A
.long 0xD3CD803C, 0x04F23D3A
.long 0xBF8C0F76
.long 0xD89A0AA0, 0x00006651
.long 0xD3CD8040, 0x0502213C
.long 0xD3CD8044, 0x0512253C
.long 0xD3CD8048, 0x0522293C
.long 0xD3CD804C, 0x05322D3C
.long 0xD3CD8050, 0x0542313C
.long 0xD3CD8054, 0x0552353C
.long 0xD3CD8058, 0x0562393C
.long 0xD3CD805C, 0x05723D3C
.long 0xD3CD8060, 0x0582213E
.long 0xBF8C0F75
.long 0xD89A0CC0, 0x00006851
.long 0xD3CD8064, 0x0592253E
.long 0xD3CD8068, 0x05A2293E
.long 0xD3CD806C, 0x05B22D3E
.long 0xD3CD8070, 0x05C2313E
.long 0xD3CD8074, 0x05D2353E
.long 0xD3CD8078, 0x05E2393E
.long 0xD3CD807C, 0x05F23D3E
.long 0xD3CD8080, 0x06022140
.long 0xD3CD8084, 0x06122540
.long 0xD3CD8088, 0x06222940
.long 0xBF8C0F74
.long 0xD89A0EE0, 0x00006A51
.long 0xD3CD808C, 0x06322D40
.long 0xD3CD8090, 0x06423140
.long 0xD3CD8094, 0x06523540
.long 0xD3CD8098, 0x06623940
.long 0xD3CD809C, 0x06723D40
.long 0xD3CD80A0, 0x06822142
.long 0xD3CD80A4, 0x06922542
.long 0xD3CD80A8, 0x06A22942
.long 0xD3CD80AC, 0x06B22D42
.long 0xBF8C0F73
.long 0xD89A1100, 0x00006C51
.long 0xD3CD80B0, 0x06C23142
.long 0xD3CD80B4, 0x06D23542
	;; [unrolled: 11-line block ×5, first 2 shown]
.long 0xD3CD00A4, 0x0692254A
.long 0xBF8CC07F
.long 0xBF8A0000
.long 0xD3CD00A8, 0x06A2294A
.long 0xD9FE0000, 0x00000074
	;; [unrolled: 1-line block ×30, first 2 shown]
.long 0xBF8CCC7F
.long 0xD1ED0076, 0x00E60104
.long 0xD3CD00E0, 0x0782214E
	;; [unrolled: 1-line block ×8, first 2 shown]
.long 0x7E020377
.long 0xD3CD00E8, 0x07A2294E
.long 0xD1ED0005, 0x00E2130D
	;; [unrolled: 1-line block ×9, first 2 shown]
.long 0x7E040376
.long 0x7E0C0379
.long 0xD1ED000C, 0x00E20707
.long 0xD3CD00F4, 0x07D2354E
	;; [unrolled: 1-line block ×4, first 2 shown]
.long 0x7E060378
.long 0xD3CD00F8, 0x07E2394E
.long 0x7E0E0377
.long 0xD1ED000F, 0x00E6170F
	;; [unrolled: 2-line block ×4, first 2 shown]
.long 0xD9FE2000, 0x10000074
.long 0xD3CD8004, 0x04120520
	;; [unrolled: 1-line block ×104, first 2 shown]
.long 0xBF8CCC7F
.long 0xD1ED0076, 0x00E62114
.long 0xD1ED0010, 0x00E22114
	;; [unrolled: 1-line block ×8, first 2 shown]
.long 0x7E220377
.long 0xD1ED0015, 0x00E2331D
.long 0xD3CD00EC, 0x07B20D36
	;; [unrolled: 1-line block ×8, first 2 shown]
.long 0x7E240376
.long 0xD3CD00F4, 0x07D21536
.long 0x7E2C0379
.long 0xD1ED001C, 0x00E22717
.long 0xD1ED001D, 0x00E2371F
	;; [unrolled: 1-line block ×4, first 2 shown]
.long 0x7E260378
.long 0x7E2E0377
.long 0xD3CD00FC, 0x07F21D36
.long 0xD1ED001F, 0x00E6371F
.long 0x7E36037A
.long 0xBF8CC07F
.long 0xD3CD8000, 0x04022138
.long 0xD3CD8004, 0x04122538
	;; [unrolled: 1-line block ×96, first 2 shown]
.long 0x8605179F
.long 0xBF068005
.long 0xBE880080
.long 0xBF85037C
.long 0xE0801000, 0x800B5452
.long 0xE0801001, 0x800B0052
.long 0xE0841002, 0x800B0152
.long 0xE0841003, 0x800B0252
.long 0xE0801004, 0x800B5552
.long 0xE0801005, 0x800B0452
.long 0xE0841006, 0x800B0552
.long 0xE0841007, 0x800B0652
.long 0xBF8C0F76
.long 0x24000088
.long 0x28A80154
.long 0xBF8C0F75
.long 0x28A80354
.long 0xBF8C0F74
.long 0x24040488
.long 0x28A80554
.long 0xBF8C0F72
.long 0x24080888
.long 0x28AA0955
.long 0xBF8C0F71
.long 0x28AA0B55
.long 0xBF8C0F70
.long 0x240C0C88
.long 0x28AA0D55
.long 0xE0801000, 0x3A0B5652
.long 0xE0801001, 0x3A0B0052
.long 0xE0841002, 0x3A0B0152
.long 0xE0841003, 0x3A0B0252
.long 0xE0801004, 0x3A0B5752
.long 0xE0801005, 0x3A0B0452
.long 0xE0841006, 0x3A0B0552
.long 0xE0841007, 0x3A0B0652
.long 0xBF8C0F76
.long 0x24000088
.long 0x28AC0156
.long 0xBF8C0F75
.long 0x28AC0356
.long 0xBF8C0F74
.long 0x24040488
.long 0x28AC0556
.long 0xBF8C0F72
.long 0x24080888
.long 0x28AE0957
.long 0xBF8C0F71
	;; [unrolled: 24-line block ×4, first 2 shown]
.long 0x28B60B5B
.long 0xBF8C0F70
	;; [unrolled: 1-line block ×4, first 2 shown]
.long 0xE0901000, 0x800C5C53
.long 0xE0941002, 0x800C0053
.long 0xBF8C0F70
.long 0x28B8015C
.long 0xE0901004, 0x800C5D53
.long 0xE0941006, 0x800C0053
.long 0xBF8C0F70
.long 0x28BA015D
	;; [unrolled: 4-line block ×24, first 2 shown]
.long 0xBF8C0F70
.long 0xBF8A0000
	;; [unrolled: 1-line block ×3, first 2 shown]
.long 0x7EF4ACF9, 0x0004067C
.long 0x7EEC14F9, 0x0006147A
.long 0x7EEC14F9, 0x0006157B
.long 0x7EF4ACF9, 0x0005067C
.long 0x7EEE14F9, 0x0006147A
.long 0x7EEE14F9, 0x0006157B
.long 0x7EF4ACF9, 0x0004067D
.long 0x7EF014F9, 0x0006147A
.long 0x7EF014F9, 0x0006157B
.long 0x7EF4ACF9, 0x0005067D
.long 0x7EF214F9, 0x0006147A
.long 0x7EF214F9, 0x0006157B
.long 0xD9BE0000, 0x00007650
.long 0x7EF87156
.long 0x7EF4ACF9, 0x0004067C
.long 0x7EEC14F9, 0x0006147A
.long 0x7EEC14F9, 0x0006157B
.long 0x7EF4ACF9, 0x0005067C
.long 0x7EEE14F9, 0x0006147A
.long 0x7EEE14F9, 0x0006157B
.long 0x7EF4ACF9, 0x0004067D
.long 0x7EF014F9, 0x0006147A
.long 0x7EF014F9, 0x0006157B
.long 0x7EF4ACF9, 0x0005067D
.long 0x7EF214F9, 0x0006147A
.long 0x7EF214F9, 0x0006157B
.long 0xD9BE0400, 0x00007650
.long 0x7EF87158
.long 0x7EF4ACF9, 0x0004067C
.long 0x7EEC14F9, 0x0006147A
.long 0x7EEC14F9, 0x0006157B
.long 0x7EF4ACF9, 0x0005067C
.long 0x7EEE14F9, 0x0006147A
.long 0x7EEE14F9, 0x0006157B
.long 0x7EF4ACF9, 0x0004067D
.long 0x7EF014F9, 0x0006147A
.long 0x7EF014F9, 0x0006157B
.long 0x7EF4ACF9, 0x0005067D
.long 0x7EF214F9, 0x0006147A
.long 0x7EF214F9, 0x0006157B
.long 0xD9BE0800, 0x00007650
.long 0x7EF8715A
.long 0x7EF4ACF9, 0x0004067C
.long 0x7EEC14F9, 0x0006147A
	;; [unrolled: 1-line block ×25, first 2 shown]
.long 0xBF8CC07F
.long 0xBF8A0000
.long 0xD9FE0000, 0x00000074
.long 0xD9FE0200, 0x04000074
	;; [unrolled: 1-line block ×17, first 2 shown]
.long 0x32E8E848
.long 0xBEC800A0
	;; [unrolled: 1-line block ×4, first 2 shown]
.long 0xD1ED0076, 0x00E60104
.long 0xD1ED0000, 0x00E20104
	;; [unrolled: 1-line block ×6, first 2 shown]
.long 0x7E020377
.long 0xD1ED0005, 0x00E2130D
.long 0xD1ED0077, 0x00E6130D
	;; [unrolled: 1-line block ×6, first 2 shown]
.long 0x7E040376
.long 0x7E0C0379
.long 0xD1ED000C, 0x00E20707
.long 0xD1ED000D, 0x00E2170F
	;; [unrolled: 1-line block ×3, first 2 shown]
.long 0x7E060378
.long 0x7E0E0377
.long 0xD1ED000F, 0x00E6170F
.long 0x7E16037A
.long 0x26C0FEBF
	;; [unrolled: 1-line block ×4, first 2 shown]
.long 0xD0C60048, 0x00000B60
.long 0xD1000000, 0x01210100
	;; [unrolled: 1-line block ×41, first 2 shown]
.long 0x6AC0C005
.long 0xD0C10048, 0x00010960
.long 0x864A8305
.long 0x80CA4A84
	;; [unrolled: 1-line block ×3, first 2 shown]
.long 0xD28F0062, 0x0002004A
.long 0xD1000000, 0x0122C500
	;; [unrolled: 1-line block ×60, first 2 shown]
.long 0xBF800001
.long 0xD3CD8000, 0x04020120
.long 0xD3CD8004, 0x04120520
	;; [unrolled: 1-line block ×96, first 2 shown]
.long 0x81859005
.long 0x80089008
	;; [unrolled: 1-line block ×6, first 2 shown]
.long 0xC00E0B00, 0x00000058
.long 0xC00A0D00, 0x00000078
	;; [unrolled: 1-line block ×3, first 2 shown]
.long 0xBF82000A
.long 0xC00A0B03, 0x00000070
.long 0xC00A0C03, 0x00000090
	;; [unrolled: 1-line block ×5, first 2 shown]
.long 0x2008FE86
.long 0x200A0881
.long 0xD2850005, 0x00020A90
.long 0x2602FEBF
.long 0x20020284
	;; [unrolled: 1-line block ×3, first 2 shown]
.long 0xD1FE0001, 0x02020305
.long 0xD2850002, 0x00004501
	;; [unrolled: 1-line block ×3, first 2 shown]
.long 0x26000881
.long 0xD2850000, 0x00020090
.long 0x260AFE8F
.long 0xD1FE0000, 0x020E0105
.long 0x922B02FF, 0x00000100
.long 0x6800002B
.long 0x922B03FF, 0x00000180
.long 0x6802022B
.long 0xBF8CC07F
	;; [unrolled: 1-line block ×5, first 2 shown]
.long 0xC0020AD6, 0x00000000
.long 0xBEB900F2
.long 0xBF12802E
	;; [unrolled: 1-line block ×3, first 2 shown]
.long 0xC0020E57, 0x00000000
.long 0xBEBC0030
.long 0xBEBD0031
.long 0xBEBF00FF, 0x00020000
.long 0xBF128030
.long 0xBF840002
	;; [unrolled: 1-line block ×12, first 2 shown]
.long 0xBEC300FF, 0x00020000
.long 0xBF128032
.long 0xBF840002
	;; [unrolled: 1-line block ×8, first 2 shown]
.long 0x923A02FF, 0x00000100
.long 0x6810FE3A
.long 0x923A0435
.long 0x6810103A
.long 0x24101082
.long 0xE0501000, 0x80100408
.long 0x2410FE82
.long 0xBF8C0F70
.long 0xBF8A0000
.long 0xD81A0000, 0x00000408
.long 0xBF820012
.long 0xB4B40004
.long 0xBF850010
.long 0x92424282
.long 0x923A02FF, 0x00000100
.long 0x6810FE3A
.long 0x923A0435
.long 0x6810103A
.long 0x24101081
.long 0xE0901000, 0x80100408
.long 0x2410FE82
.long 0xBF8C0F70
.long 0xBF8A0000
.long 0x7E081704
.long 0xD81A0000, 0x00000408
.long 0xBF820000
.long 0x7E080228
.long 0xBF8CC07F
.long 0xD1050004, 0x00005704
.long 0xD1050004, 0x00007304
.long 0xBF800000
.long 0x7E500504
	;; [unrolled: 1-line block ×19, first 2 shown]
.long 0x812B84FF, 0x00013CC0
.long 0x803A2B3A
.long 0x823B803B
.long 0xBF820030
.long 0xBEBA1C00
.long 0x812B84FF, 0x00013CAC
.long 0x803A2B3A
.long 0x823B803B
.long 0xBF82002A
.long 0xBEBA1C00
	;; [unrolled: 5-line block ×9, first 2 shown]
.long 0xBF842256
.long 0x864614FF, 0x000000FF
.long 0x804709C1
.long 0xBF094702
	;; [unrolled: 1-line block ×6, first 2 shown]
.long 0x924815FF, 0x00000155
.long 0x8EC89048
.long 0x9247FF15, 0x00005556
.long 0x80484847
.long 0x82498049
	;; [unrolled: 1-line block ×4, first 2 shown]
.long 0x9248FF47, 0x00000180
.long 0x80C64815
.long 0x80470AC1
	;; [unrolled: 1-line block ×6, first 2 shown]
.long 0x924602FF, 0x00000100
.long 0xD135000F, 0x00008D00
.long 0x241E1E82
.long 0xBF8CC07F
	;; [unrolled: 1-line block ×3, first 2 shown]
.long 0xD9FE0000, 0x1800000F
.long 0xD9FE0010, 0x1C00000F
.long 0x24200082
.long 0xE05C1000, 0x800F2010
.long 0xE05C1010, 0x800F2410
	;; [unrolled: 1-line block ×35, first 2 shown]
.long 0xBF800001
.long 0x0A505028
	;; [unrolled: 1-line block ×34, first 2 shown]
.long 0xD0CC0030, 0x0001003E
.long 0xD1000020, 0x00C240F2
	;; [unrolled: 1-line block ×20, first 2 shown]
.long 0xBEC41E3A
.long 0x7E500304
.long 0x7E520305
.long 0x7E540306
.long 0x7E560307
.long 0x7E580308
.long 0x7E5A0309
.long 0x7E5C030A
.long 0x7E5E030B
.long 0xE07C1000, 0x8003280D
.long 0xE07C1010, 0x80032C0D
.long 0xD0CC0030, 0x0001003E
.long 0xD1000020, 0x00C240F2
.long 0xD1000021, 0x00C242F2
.long 0xD3B14030, 0x18026120
.long 0xD0CC0030, 0x0001003E
.long 0xD1000022, 0x00C244F2
.long 0xD1000023, 0x00C246F2
.long 0xD3B14032, 0x18026522
.long 0xD0CC0030, 0x0001003E
.long 0xD1000024, 0x00C248F2
.long 0xD1000025, 0x00C24AF2
.long 0xD3B14034, 0x18026924
.long 0xD0CC0030, 0x0001003E
.long 0xD1000026, 0x00C24CF2
.long 0xD1000027, 0x00C24EF2
.long 0xD3B14036, 0x18026D26
.long 0xD3B24004, 0x18026118
.long 0xD3B24006, 0x1802651A
.long 0xD3B24008, 0x1802691C
.long 0xD3B2400A, 0x18026D1E
.long 0xBEC41E3A
.long 0x7E600304
.long 0x7E620305
.long 0x7E640306
.long 0x7E660307
.long 0x7E680308
.long 0x7E6A0309
.long 0x7E6C030A
.long 0x7E6E030B
.long 0x8E468220
.long 0x800C460C
.long 0x820D800D
.long 0xE07C1000, 0x8003300D
.long 0xE07C1010, 0x8003340D
.long 0xD0CC0030, 0x0001003E
.long 0xD1000020, 0x00C240F2
.long 0xD1000021, 0x00C242F2
.long 0xD3B14038, 0x18027120
.long 0xD0CC0030, 0x0001003E
.long 0xD1000022, 0x00C244F2
.long 0xD1000023, 0x00C246F2
.long 0xD3B1403A, 0x18027522
.long 0xD0CC0030, 0x0001003E
.long 0xD1000024, 0x00C248F2
.long 0xD1000025, 0x00C24AF2
.long 0xD3B1403C, 0x18027924
.long 0xD0CC0030, 0x0001003E
.long 0xD1000026, 0x00C24CF2
.long 0xD1000027, 0x00C24EF2
.long 0xD3B1403E, 0x18027D26
.long 0xD3B24004, 0x18027118
.long 0xD3B24006, 0x1802751A
.long 0xD3B24008, 0x1802791C
.long 0xD3B2400A, 0x18027D1E
.long 0xBEC41E3A
.long 0x7E700304
.long 0x7E720305
	;; [unrolled: 34-line block ×3, first 2 shown]
.long 0x7E840306
.long 0x7E860307
	;; [unrolled: 1-line block ×9, first 2 shown]
.long 0xE07C1000, 0x8003400D
.long 0xE07C1010, 0x8003440D
.long 0xBF800000
.long 0x924602FF, 0x00000100
.long 0xD135000F, 0x00008D00
.long 0x241E1E82
.long 0xD9FE0000, 0x1800000F
.long 0xD9FE0010, 0x1C00000F
	;; [unrolled: 1-line block ×36, first 2 shown]
.long 0xBF800001
.long 0x0A505028
	;; [unrolled: 1-line block ×34, first 2 shown]
.long 0xD0CC0030, 0x0001003E
.long 0xD1000020, 0x00C240F2
	;; [unrolled: 1-line block ×20, first 2 shown]
.long 0xBEC41E3A
.long 0x7E500304
	;; [unrolled: 1-line block ×9, first 2 shown]
.long 0x9246FF20, 0x00000074
.long 0x800C460C
.long 0x820D800D
.long 0xE07C1000, 0x8003280D
.long 0xE07C1010, 0x80032C0D
.long 0xD0CC0030, 0x0001003E
.long 0xD1000020, 0x00C240F2
.long 0xD1000021, 0x00C242F2
.long 0xD3B14030, 0x18026120
.long 0xD0CC0030, 0x0001003E
.long 0xD1000022, 0x00C244F2
.long 0xD1000023, 0x00C246F2
.long 0xD3B14032, 0x18026522
.long 0xD0CC0030, 0x0001003E
.long 0xD1000024, 0x00C248F2
.long 0xD1000025, 0x00C24AF2
.long 0xD3B14034, 0x18026924
.long 0xD0CC0030, 0x0001003E
.long 0xD1000026, 0x00C24CF2
.long 0xD1000027, 0x00C24EF2
.long 0xD3B14036, 0x18026D26
.long 0xD3B24004, 0x18026118
.long 0xD3B24006, 0x1802651A
.long 0xD3B24008, 0x1802691C
.long 0xD3B2400A, 0x18026D1E
.long 0xBEC41E3A
.long 0x7E600304
.long 0x7E620305
.long 0x7E640306
.long 0x7E660307
.long 0x7E680308
.long 0x7E6A0309
.long 0x7E6C030A
.long 0x7E6E030B
.long 0x8E468220
.long 0x800C460C
.long 0x820D800D
.long 0xE07C1000, 0x8003300D
.long 0xE07C1010, 0x8003340D
.long 0xD0CC0030, 0x0001003E
.long 0xD1000020, 0x00C240F2
.long 0xD1000021, 0x00C242F2
.long 0xD3B14038, 0x18027120
.long 0xD0CC0030, 0x0001003E
.long 0xD1000022, 0x00C244F2
.long 0xD1000023, 0x00C246F2
.long 0xD3B1403A, 0x18027522
.long 0xD0CC0030, 0x0001003E
.long 0xD1000024, 0x00C248F2
.long 0xD1000025, 0x00C24AF2
.long 0xD3B1403C, 0x18027924
.long 0xD0CC0030, 0x0001003E
.long 0xD1000026, 0x00C24CF2
.long 0xD1000027, 0x00C24EF2
.long 0xD3B1403E, 0x18027D26
.long 0xD3B24004, 0x18027118
.long 0xD3B24006, 0x1802751A
.long 0xD3B24008, 0x1802791C
.long 0xD3B2400A, 0x18027D1E
.long 0xBEC41E3A
.long 0x7E700304
.long 0x7E720305
.long 0x7E740306
.long 0x7E760307
.long 0x7E780308
.long 0x7E7A0309
.long 0x7E7C030A
.long 0x7E7E030B
.long 0x8E468220
	;; [unrolled: 34-line block ×3, first 2 shown]
.long 0x800C460C
.long 0x820D800D
.long 0xE07C1000, 0x8003400D
.long 0xE07C1010, 0x8003440D
.long 0xBF800000
.long 0x924602FF, 0x00000100
.long 0xD135000F, 0x00008D00
	;; [unrolled: 3-line block ×3, first 2 shown]
.long 0xE05C1000, 0x800F2010
.long 0xE05C1010, 0x800F2410
	;; [unrolled: 1-line block ×34, first 2 shown]
.long 0xBF800001
.long 0x0A505028
	;; [unrolled: 1-line block ×34, first 2 shown]
.long 0xD0CC0030, 0x0001003E
.long 0xD1000020, 0x00C240F2
	;; [unrolled: 1-line block ×20, first 2 shown]
.long 0xBEC41E3A
.long 0x7E500304
	;; [unrolled: 1-line block ×9, first 2 shown]
.long 0x9246FF20, 0x00000074
.long 0x800C460C
.long 0x820D800D
.long 0xE07C1000, 0x8003280D
.long 0xE07C1010, 0x80032C0D
.long 0xD0CC0030, 0x0001003E
.long 0xD1000020, 0x00C240F2
.long 0xD1000021, 0x00C242F2
.long 0xD3B14030, 0x18026120
.long 0xD0CC0030, 0x0001003E
.long 0xD1000022, 0x00C244F2
.long 0xD1000023, 0x00C246F2
.long 0xD3B14032, 0x18026522
.long 0xD0CC0030, 0x0001003E
.long 0xD1000024, 0x00C248F2
.long 0xD1000025, 0x00C24AF2
.long 0xD3B14034, 0x18026924
.long 0xD0CC0030, 0x0001003E
.long 0xD1000026, 0x00C24CF2
.long 0xD1000027, 0x00C24EF2
.long 0xD3B14036, 0x18026D26
.long 0xD3B24004, 0x18026118
.long 0xD3B24006, 0x1802651A
.long 0xD3B24008, 0x1802691C
.long 0xD3B2400A, 0x18026D1E
.long 0xBEC41E3A
.long 0x7E600304
.long 0x7E620305
.long 0x7E640306
.long 0x7E660307
.long 0x7E680308
.long 0x7E6A0309
.long 0x7E6C030A
.long 0x7E6E030B
.long 0x8E468220
.long 0x800C460C
.long 0x820D800D
.long 0xE07C1000, 0x8003300D
.long 0xE07C1010, 0x8003340D
.long 0xD0CC0030, 0x0001003E
.long 0xD1000020, 0x00C240F2
.long 0xD1000021, 0x00C242F2
.long 0xD3B14038, 0x18027120
.long 0xD0CC0030, 0x0001003E
.long 0xD1000022, 0x00C244F2
.long 0xD1000023, 0x00C246F2
.long 0xD3B1403A, 0x18027522
.long 0xD0CC0030, 0x0001003E
.long 0xD1000024, 0x00C248F2
.long 0xD1000025, 0x00C24AF2
.long 0xD3B1403C, 0x18027924
.long 0xD0CC0030, 0x0001003E
.long 0xD1000026, 0x00C24CF2
.long 0xD1000027, 0x00C24EF2
.long 0xD3B1403E, 0x18027D26
.long 0xD3B24004, 0x18027118
.long 0xD3B24006, 0x1802751A
.long 0xD3B24008, 0x1802791C
.long 0xD3B2400A, 0x18027D1E
.long 0xBEC41E3A
.long 0x7E700304
.long 0x7E720305
.long 0x7E740306
.long 0x7E760307
.long 0x7E780308
.long 0x7E7A0309
.long 0x7E7C030A
.long 0x7E7E030B
.long 0x8E468220
.long 0x800C460C
.long 0x820D800D
.long 0xE07C1000, 0x8003380D
.long 0xE07C1010, 0x80033C0D
.long 0xD0CC0030, 0x0001003E
.long 0xD1000020, 0x00C240F2
.long 0xD1000021, 0x00C242F2
.long 0xD3B14040, 0x18028120
.long 0xD0CC0030, 0x0001003E
.long 0xD1000022, 0x00C244F2
.long 0xD1000023, 0x00C246F2
.long 0xD3B14042, 0x18028522
.long 0xD0CC0030, 0x0001003E
.long 0xD1000024, 0x00C248F2
.long 0xD1000025, 0x00C24AF2
.long 0xD3B14044, 0x18028924
.long 0xD0CC0030, 0x0001003E
.long 0xD1000026, 0x00C24CF2
.long 0xD1000027, 0x00C24EF2
.long 0xD3B14046, 0x18028D26
.long 0xD3B24004, 0x18028118
.long 0xD3B24006, 0x1802851A
.long 0xD3B24008, 0x1802891C
.long 0xD3B2400A, 0x18028D1E
.long 0xBEC41E3A
.long 0x7E800304
.long 0x7E820305
.long 0x7E840306
.long 0x7E860307
.long 0x7E880308
.long 0x7E8A0309
.long 0x7E8C030A
.long 0x7E8E030B
.long 0x8E468220
.long 0x800C460C
.long 0x820D800D
.long 0xE07C1000, 0x8003400D
.long 0xE07C1010, 0x8003440D
.long 0xBF800000
.long 0x924602FF, 0x00000100
.long 0xD135000F, 0x00008D00
.long 0x241E1E82
.long 0xD9FE0000, 0x1800000F
.long 0xD9FE0010, 0x1C00000F
.long 0xE05C1000, 0x800F2010
.long 0xE05C1010, 0x800F2410
	;; [unrolled: 1-line block ×34, first 2 shown]
.long 0xBF800001
.long 0x0A505028
	;; [unrolled: 1-line block ×34, first 2 shown]
.long 0xD0CC0030, 0x0001003E
.long 0xD1000020, 0x00C240F2
	;; [unrolled: 1-line block ×20, first 2 shown]
.long 0xBEC41E3A
.long 0x7E500304
	;; [unrolled: 1-line block ×9, first 2 shown]
.long 0x9246FF20, 0x00000074
.long 0x800C460C
.long 0x820D800D
.long 0xE07C1000, 0x8003280D
.long 0xE07C1010, 0x80032C0D
.long 0xD0CC0030, 0x0001003E
.long 0xD1000020, 0x00C240F2
.long 0xD1000021, 0x00C242F2
.long 0xD3B14030, 0x18026120
.long 0xD0CC0030, 0x0001003E
.long 0xD1000022, 0x00C244F2
.long 0xD1000023, 0x00C246F2
.long 0xD3B14032, 0x18026522
.long 0xD0CC0030, 0x0001003E
.long 0xD1000024, 0x00C248F2
.long 0xD1000025, 0x00C24AF2
.long 0xD3B14034, 0x18026924
.long 0xD0CC0030, 0x0001003E
.long 0xD1000026, 0x00C24CF2
.long 0xD1000027, 0x00C24EF2
.long 0xD3B14036, 0x18026D26
.long 0xD3B24004, 0x18026118
.long 0xD3B24006, 0x1802651A
.long 0xD3B24008, 0x1802691C
.long 0xD3B2400A, 0x18026D1E
.long 0xBEC41E3A
.long 0x7E600304
.long 0x7E620305
.long 0x7E640306
.long 0x7E660307
.long 0x7E680308
.long 0x7E6A0309
.long 0x7E6C030A
.long 0x7E6E030B
.long 0x8E468220
.long 0x800C460C
.long 0x820D800D
.long 0xE07C1000, 0x8003300D
.long 0xE07C1010, 0x8003340D
.long 0xD0CC0030, 0x0001003E
.long 0xD1000020, 0x00C240F2
.long 0xD1000021, 0x00C242F2
.long 0xD3B14038, 0x18027120
.long 0xD0CC0030, 0x0001003E
.long 0xD1000022, 0x00C244F2
.long 0xD1000023, 0x00C246F2
.long 0xD3B1403A, 0x18027522
.long 0xD0CC0030, 0x0001003E
.long 0xD1000024, 0x00C248F2
.long 0xD1000025, 0x00C24AF2
.long 0xD3B1403C, 0x18027924
.long 0xD0CC0030, 0x0001003E
.long 0xD1000026, 0x00C24CF2
.long 0xD1000027, 0x00C24EF2
.long 0xD3B1403E, 0x18027D26
.long 0xD3B24004, 0x18027118
.long 0xD3B24006, 0x1802751A
.long 0xD3B24008, 0x1802791C
.long 0xD3B2400A, 0x18027D1E
.long 0xBEC41E3A
.long 0x7E700304
.long 0x7E720305
.long 0x7E740306
.long 0x7E760307
.long 0x7E780308
.long 0x7E7A0309
.long 0x7E7C030A
.long 0x7E7E030B
.long 0x8E468220
	;; [unrolled: 34-line block ×3, first 2 shown]
.long 0x800C460C
.long 0x820D800D
.long 0xE07C1000, 0x8003400D
.long 0xE07C1010, 0x8003440D
.long 0xBF800000
.long 0x924602FF, 0x00000100
.long 0xD135000F, 0x00008D00
	;; [unrolled: 3-line block ×3, first 2 shown]
.long 0xE05C1000, 0x800F2010
.long 0xE05C1010, 0x800F2410
	;; [unrolled: 1-line block ×34, first 2 shown]
.long 0xBF800001
.long 0x0A505028
.long 0x0A525228
.long 0x0A545428
.long 0x0A565628
.long 0x0A585828
.long 0x0A5A5A28
.long 0x0A5C5C28
.long 0x0A5E5E28
.long 0x0A606028
.long 0x0A626228
.long 0x0A646428
.long 0x0A666628
.long 0x0A686828
.long 0x0A6A6A28
.long 0x0A6C6C28
.long 0x0A6E6E28
.long 0x0A707028
.long 0x0A727228
.long 0x0A747428
.long 0x0A767628
.long 0x0A787828
.long 0x0A7A7A28
.long 0x0A7C7C28
.long 0x0A7E7E28
.long 0x0A808028
.long 0x0A828228
.long 0x0A848428
.long 0x0A868628
.long 0x0A888828
.long 0x0A8A8A28
.long 0x0A8C8C28
.long 0x0A8E8E28
.long 0xBF8C0000
.long 0xD0CC0030, 0x0001003E
.long 0xD1000020, 0x00C240F2
	;; [unrolled: 1-line block ×20, first 2 shown]
.long 0xBEC41E3A
.long 0x7E500304
.long 0x7E520305
.long 0x7E540306
.long 0x7E560307
.long 0x7E580308
.long 0x7E5A0309
.long 0x7E5C030A
.long 0x7E5E030B
.long 0x9246FF20, 0x00000074
.long 0x800C460C
.long 0x820D800D
.long 0xE07C1000, 0x8003280D
.long 0xE07C1010, 0x80032C0D
.long 0xD0CC0030, 0x0001003E
.long 0xD1000020, 0x00C240F2
.long 0xD1000021, 0x00C242F2
.long 0xD3B14030, 0x18026120
.long 0xD0CC0030, 0x0001003E
.long 0xD1000022, 0x00C244F2
.long 0xD1000023, 0x00C246F2
.long 0xD3B14032, 0x18026522
.long 0xD0CC0030, 0x0001003E
.long 0xD1000024, 0x00C248F2
.long 0xD1000025, 0x00C24AF2
.long 0xD3B14034, 0x18026924
.long 0xD0CC0030, 0x0001003E
.long 0xD1000026, 0x00C24CF2
.long 0xD1000027, 0x00C24EF2
.long 0xD3B14036, 0x18026D26
.long 0xD3B24004, 0x18026118
.long 0xD3B24006, 0x1802651A
.long 0xD3B24008, 0x1802691C
.long 0xD3B2400A, 0x18026D1E
.long 0xBEC41E3A
.long 0x7E600304
.long 0x7E620305
.long 0x7E640306
.long 0x7E660307
.long 0x7E680308
.long 0x7E6A0309
.long 0x7E6C030A
.long 0x7E6E030B
.long 0x8E468220
.long 0x800C460C
.long 0x820D800D
.long 0xE07C1000, 0x8003300D
.long 0xE07C1010, 0x8003340D
.long 0xD0CC0030, 0x0001003E
.long 0xD1000020, 0x00C240F2
.long 0xD1000021, 0x00C242F2
.long 0xD3B14038, 0x18027120
.long 0xD0CC0030, 0x0001003E
.long 0xD1000022, 0x00C244F2
.long 0xD1000023, 0x00C246F2
.long 0xD3B1403A, 0x18027522
.long 0xD0CC0030, 0x0001003E
.long 0xD1000024, 0x00C248F2
.long 0xD1000025, 0x00C24AF2
.long 0xD3B1403C, 0x18027924
.long 0xD0CC0030, 0x0001003E
.long 0xD1000026, 0x00C24CF2
.long 0xD1000027, 0x00C24EF2
.long 0xD3B1403E, 0x18027D26
.long 0xD3B24004, 0x18027118
.long 0xD3B24006, 0x1802751A
.long 0xD3B24008, 0x1802791C
.long 0xD3B2400A, 0x18027D1E
.long 0xBEC41E3A
.long 0x7E700304
.long 0x7E720305
.long 0x7E740306
.long 0x7E760307
.long 0x7E780308
.long 0x7E7A0309
.long 0x7E7C030A
.long 0x7E7E030B
.long 0x8E468220
	;; [unrolled: 34-line block ×3, first 2 shown]
.long 0x800C460C
.long 0x820D800D
.long 0xE07C1000, 0x8003400D
.long 0xE07C1010, 0x8003440D
.long 0xBF800000
.long 0x924602FF, 0x00000100
.long 0xD135000F, 0x00008D00
	;; [unrolled: 3-line block ×3, first 2 shown]
.long 0xE05C1000, 0x800F2010
.long 0xE05C1010, 0x800F2410
	;; [unrolled: 1-line block ×34, first 2 shown]
.long 0xBF800001
.long 0x0A505028
	;; [unrolled: 1-line block ×34, first 2 shown]
.long 0xD0CC0030, 0x0001003E
.long 0xD1000020, 0x00C240F2
	;; [unrolled: 1-line block ×20, first 2 shown]
.long 0xBEC41E3A
.long 0x7E500304
	;; [unrolled: 1-line block ×9, first 2 shown]
.long 0x9246FF20, 0x00000074
.long 0x800C460C
.long 0x820D800D
.long 0xE07C1000, 0x8003280D
.long 0xE07C1010, 0x80032C0D
.long 0xD0CC0030, 0x0001003E
.long 0xD1000020, 0x00C240F2
.long 0xD1000021, 0x00C242F2
.long 0xD3B14030, 0x18026120
.long 0xD0CC0030, 0x0001003E
.long 0xD1000022, 0x00C244F2
.long 0xD1000023, 0x00C246F2
.long 0xD3B14032, 0x18026522
.long 0xD0CC0030, 0x0001003E
.long 0xD1000024, 0x00C248F2
.long 0xD1000025, 0x00C24AF2
.long 0xD3B14034, 0x18026924
.long 0xD0CC0030, 0x0001003E
.long 0xD1000026, 0x00C24CF2
.long 0xD1000027, 0x00C24EF2
.long 0xD3B14036, 0x18026D26
.long 0xD3B24004, 0x18026118
.long 0xD3B24006, 0x1802651A
.long 0xD3B24008, 0x1802691C
.long 0xD3B2400A, 0x18026D1E
.long 0xBEC41E3A
.long 0x7E600304
.long 0x7E620305
.long 0x7E640306
.long 0x7E660307
.long 0x7E680308
.long 0x7E6A0309
.long 0x7E6C030A
.long 0x7E6E030B
.long 0x8E468220
.long 0x800C460C
.long 0x820D800D
.long 0xE07C1000, 0x8003300D
.long 0xE07C1010, 0x8003340D
.long 0xD0CC0030, 0x0001003E
.long 0xD1000020, 0x00C240F2
.long 0xD1000021, 0x00C242F2
.long 0xD3B14038, 0x18027120
.long 0xD0CC0030, 0x0001003E
.long 0xD1000022, 0x00C244F2
.long 0xD1000023, 0x00C246F2
.long 0xD3B1403A, 0x18027522
.long 0xD0CC0030, 0x0001003E
.long 0xD1000024, 0x00C248F2
.long 0xD1000025, 0x00C24AF2
.long 0xD3B1403C, 0x18027924
.long 0xD0CC0030, 0x0001003E
.long 0xD1000026, 0x00C24CF2
.long 0xD1000027, 0x00C24EF2
.long 0xD3B1403E, 0x18027D26
.long 0xD3B24004, 0x18027118
.long 0xD3B24006, 0x1802751A
.long 0xD3B24008, 0x1802791C
.long 0xD3B2400A, 0x18027D1E
.long 0xBEC41E3A
.long 0x7E700304
.long 0x7E720305
.long 0x7E740306
.long 0x7E760307
.long 0x7E780308
.long 0x7E7A0309
.long 0x7E7C030A
.long 0x7E7E030B
.long 0x8E468220
	;; [unrolled: 34-line block ×3, first 2 shown]
.long 0x800C460C
.long 0x820D800D
.long 0xE07C1000, 0x8003400D
.long 0xE07C1010, 0x8003440D
.long 0xBF800000
.long 0x924602FF, 0x00000100
.long 0xD135000F, 0x00008D00
	;; [unrolled: 3-line block ×3, first 2 shown]
.long 0xE05C1000, 0x800F2010
.long 0xE05C1010, 0x800F2410
	;; [unrolled: 1-line block ×34, first 2 shown]
.long 0xBF800001
.long 0x0A505028
	;; [unrolled: 1-line block ×34, first 2 shown]
.long 0xD0CC0030, 0x0001003E
.long 0xD1000020, 0x00C240F2
	;; [unrolled: 1-line block ×20, first 2 shown]
.long 0xBEC41E3A
.long 0x7E500304
	;; [unrolled: 1-line block ×9, first 2 shown]
.long 0x9246FF20, 0x00000074
.long 0x800C460C
.long 0x820D800D
.long 0xE07C1000, 0x8003280D
.long 0xE07C1010, 0x80032C0D
.long 0xD0CC0030, 0x0001003E
.long 0xD1000020, 0x00C240F2
.long 0xD1000021, 0x00C242F2
.long 0xD3B14030, 0x18026120
.long 0xD0CC0030, 0x0001003E
.long 0xD1000022, 0x00C244F2
.long 0xD1000023, 0x00C246F2
.long 0xD3B14032, 0x18026522
.long 0xD0CC0030, 0x0001003E
.long 0xD1000024, 0x00C248F2
.long 0xD1000025, 0x00C24AF2
.long 0xD3B14034, 0x18026924
.long 0xD0CC0030, 0x0001003E
.long 0xD1000026, 0x00C24CF2
.long 0xD1000027, 0x00C24EF2
.long 0xD3B14036, 0x18026D26
.long 0xD3B24004, 0x18026118
.long 0xD3B24006, 0x1802651A
.long 0xD3B24008, 0x1802691C
.long 0xD3B2400A, 0x18026D1E
.long 0xBEC41E3A
.long 0x7E600304
.long 0x7E620305
.long 0x7E640306
.long 0x7E660307
.long 0x7E680308
.long 0x7E6A0309
.long 0x7E6C030A
.long 0x7E6E030B
.long 0x8E468220
.long 0x800C460C
.long 0x820D800D
.long 0xE07C1000, 0x8003300D
.long 0xE07C1010, 0x8003340D
.long 0xD0CC0030, 0x0001003E
.long 0xD1000020, 0x00C240F2
.long 0xD1000021, 0x00C242F2
.long 0xD3B14038, 0x18027120
.long 0xD0CC0030, 0x0001003E
.long 0xD1000022, 0x00C244F2
.long 0xD1000023, 0x00C246F2
.long 0xD3B1403A, 0x18027522
.long 0xD0CC0030, 0x0001003E
.long 0xD1000024, 0x00C248F2
.long 0xD1000025, 0x00C24AF2
.long 0xD3B1403C, 0x18027924
.long 0xD0CC0030, 0x0001003E
.long 0xD1000026, 0x00C24CF2
.long 0xD1000027, 0x00C24EF2
.long 0xD3B1403E, 0x18027D26
.long 0xD3B24004, 0x18027118
.long 0xD3B24006, 0x1802751A
.long 0xD3B24008, 0x1802791C
.long 0xD3B2400A, 0x18027D1E
.long 0xBEC41E3A
.long 0x7E700304
.long 0x7E720305
.long 0x7E740306
.long 0x7E760307
.long 0x7E780308
.long 0x7E7A0309
.long 0x7E7C030A
.long 0x7E7E030B
.long 0x8E468220
	;; [unrolled: 34-line block ×3, first 2 shown]
.long 0x800C460C
.long 0x820D800D
.long 0xE07C1000, 0x8003400D
.long 0xE07C1010, 0x8003440D
.long 0xBF800000
.long 0x924602FF, 0x00000100
.long 0xD135000F, 0x00008D00
	;; [unrolled: 3-line block ×3, first 2 shown]
.long 0xE05C1000, 0x800F2010
.long 0xE05C1010, 0x800F2410
	;; [unrolled: 1-line block ×34, first 2 shown]
.long 0xBF800001
.long 0x0A505028
	;; [unrolled: 1-line block ×34, first 2 shown]
.long 0xD0CC0030, 0x0001003E
.long 0xD1000020, 0x00C240F2
	;; [unrolled: 1-line block ×20, first 2 shown]
.long 0xBEC41E3A
.long 0x7E500304
	;; [unrolled: 1-line block ×9, first 2 shown]
.long 0x9246FF20, 0x00000074
.long 0x800C460C
.long 0x820D800D
.long 0xE07C1000, 0x8003280D
.long 0xE07C1010, 0x80032C0D
.long 0xD0CC0030, 0x0001003E
.long 0xD1000020, 0x00C240F2
.long 0xD1000021, 0x00C242F2
.long 0xD3B14030, 0x18026120
.long 0xD0CC0030, 0x0001003E
.long 0xD1000022, 0x00C244F2
.long 0xD1000023, 0x00C246F2
.long 0xD3B14032, 0x18026522
.long 0xD0CC0030, 0x0001003E
.long 0xD1000024, 0x00C248F2
.long 0xD1000025, 0x00C24AF2
.long 0xD3B14034, 0x18026924
.long 0xD0CC0030, 0x0001003E
.long 0xD1000026, 0x00C24CF2
.long 0xD1000027, 0x00C24EF2
.long 0xD3B14036, 0x18026D26
.long 0xD3B24004, 0x18026118
.long 0xD3B24006, 0x1802651A
.long 0xD3B24008, 0x1802691C
.long 0xD3B2400A, 0x18026D1E
.long 0xBEC41E3A
.long 0x7E600304
.long 0x7E620305
.long 0x7E640306
.long 0x7E660307
.long 0x7E680308
.long 0x7E6A0309
.long 0x7E6C030A
.long 0x7E6E030B
.long 0x8E468220
.long 0x800C460C
.long 0x820D800D
.long 0xE07C1000, 0x8003300D
.long 0xE07C1010, 0x8003340D
.long 0xD0CC0030, 0x0001003E
.long 0xD1000020, 0x00C240F2
.long 0xD1000021, 0x00C242F2
.long 0xD3B14038, 0x18027120
.long 0xD0CC0030, 0x0001003E
.long 0xD1000022, 0x00C244F2
.long 0xD1000023, 0x00C246F2
.long 0xD3B1403A, 0x18027522
.long 0xD0CC0030, 0x0001003E
.long 0xD1000024, 0x00C248F2
.long 0xD1000025, 0x00C24AF2
.long 0xD3B1403C, 0x18027924
.long 0xD0CC0030, 0x0001003E
.long 0xD1000026, 0x00C24CF2
.long 0xD1000027, 0x00C24EF2
.long 0xD3B1403E, 0x18027D26
.long 0xD3B24004, 0x18027118
.long 0xD3B24006, 0x1802751A
.long 0xD3B24008, 0x1802791C
.long 0xD3B2400A, 0x18027D1E
.long 0xBEC41E3A
.long 0x7E700304
.long 0x7E720305
.long 0x7E740306
.long 0x7E760307
.long 0x7E780308
.long 0x7E7A0309
.long 0x7E7C030A
.long 0x7E7E030B
.long 0x8E468220
	;; [unrolled: 34-line block ×3, first 2 shown]
.long 0x800C460C
.long 0x820D800D
.long 0xE07C1000, 0x8003400D
.long 0xE07C1010, 0x8003440D
.long 0xBF800000
.long 0x924602FF, 0x00000100
.long 0xD135000F, 0x00008D00
	;; [unrolled: 3-line block ×3, first 2 shown]
.long 0xE05C1000, 0x800F2010
.long 0xE05C1010, 0x800F2410
.long 0x7E500380
.long 0x7E520384
	;; [unrolled: 1-line block ×66, first 2 shown]
.long 0xD0CC0030, 0x0001003E
.long 0xD1000020, 0x00C240F2
	;; [unrolled: 1-line block ×20, first 2 shown]
.long 0xBEC41E3A
.long 0x7E500304
	;; [unrolled: 1-line block ×9, first 2 shown]
.long 0x9246FF20, 0x00000074
.long 0x800C460C
.long 0x820D800D
.long 0xE07C1000, 0x8003280D
.long 0xE07C1010, 0x80032C0D
.long 0xD0CC0030, 0x0001003E
.long 0xD1000020, 0x00C240F2
.long 0xD1000021, 0x00C242F2
.long 0xD3B14030, 0x18026120
.long 0xD0CC0030, 0x0001003E
.long 0xD1000022, 0x00C244F2
.long 0xD1000023, 0x00C246F2
.long 0xD3B14032, 0x18026522
.long 0xD0CC0030, 0x0001003E
.long 0xD1000024, 0x00C248F2
.long 0xD1000025, 0x00C24AF2
.long 0xD3B14034, 0x18026924
.long 0xD0CC0030, 0x0001003E
.long 0xD1000026, 0x00C24CF2
.long 0xD1000027, 0x00C24EF2
.long 0xD3B14036, 0x18026D26
.long 0xD3B24004, 0x18026118
.long 0xD3B24006, 0x1802651A
.long 0xD3B24008, 0x1802691C
.long 0xD3B2400A, 0x18026D1E
.long 0xBEC41E3A
.long 0x7E600304
.long 0x7E620305
.long 0x7E640306
.long 0x7E660307
.long 0x7E680308
.long 0x7E6A0309
.long 0x7E6C030A
.long 0x7E6E030B
.long 0x8E468220
.long 0x800C460C
.long 0x820D800D
.long 0xE07C1000, 0x8003300D
.long 0xE07C1010, 0x8003340D
.long 0xD0CC0030, 0x0001003E
.long 0xD1000020, 0x00C240F2
.long 0xD1000021, 0x00C242F2
.long 0xD3B14038, 0x18027120
.long 0xD0CC0030, 0x0001003E
.long 0xD1000022, 0x00C244F2
.long 0xD1000023, 0x00C246F2
.long 0xD3B1403A, 0x18027522
.long 0xD0CC0030, 0x0001003E
.long 0xD1000024, 0x00C248F2
.long 0xD1000025, 0x00C24AF2
.long 0xD3B1403C, 0x18027924
.long 0xD0CC0030, 0x0001003E
.long 0xD1000026, 0x00C24CF2
.long 0xD1000027, 0x00C24EF2
.long 0xD3B1403E, 0x18027D26
.long 0xD3B24004, 0x18027118
.long 0xD3B24006, 0x1802751A
.long 0xD3B24008, 0x1802791C
.long 0xD3B2400A, 0x18027D1E
.long 0xBEC41E3A
.long 0x7E700304
.long 0x7E720305
.long 0x7E740306
.long 0x7E760307
.long 0x7E780308
.long 0x7E7A0309
.long 0x7E7C030A
.long 0x7E7E030B
.long 0x8E468220
	;; [unrolled: 34-line block ×3, first 2 shown]
.long 0x800C460C
.long 0x820D800D
.long 0xE07C1000, 0x8003400D
.long 0xE07C1010, 0x8003440D
.long 0xBF800000
.long 0x924602FF, 0x00000100
.long 0xD135000F, 0x00008D00
.long 0x241E1E82
.long 0xD9FE0000, 0x1800000F
.long 0xD9FE0010, 0x1C00000F
.long 0xE05C1000, 0x800F2010
.long 0xE05C1010, 0x800F2410
.long 0x7E5003A0
.long 0x7E5203A4
	;; [unrolled: 1-line block ×66, first 2 shown]
.long 0xD0CC0030, 0x0001003E
.long 0xD1000020, 0x00C240F2
	;; [unrolled: 1-line block ×20, first 2 shown]
.long 0xBEC41E3A
.long 0x7E500304
	;; [unrolled: 1-line block ×9, first 2 shown]
.long 0x9246FF20, 0x00000074
.long 0x800C460C
.long 0x820D800D
.long 0xE07C1000, 0x8003280D
.long 0xE07C1010, 0x80032C0D
.long 0xD0CC0030, 0x0001003E
.long 0xD1000020, 0x00C240F2
.long 0xD1000021, 0x00C242F2
.long 0xD3B14030, 0x18026120
.long 0xD0CC0030, 0x0001003E
.long 0xD1000022, 0x00C244F2
.long 0xD1000023, 0x00C246F2
.long 0xD3B14032, 0x18026522
.long 0xD0CC0030, 0x0001003E
.long 0xD1000024, 0x00C248F2
.long 0xD1000025, 0x00C24AF2
.long 0xD3B14034, 0x18026924
.long 0xD0CC0030, 0x0001003E
.long 0xD1000026, 0x00C24CF2
.long 0xD1000027, 0x00C24EF2
.long 0xD3B14036, 0x18026D26
.long 0xD3B24004, 0x18026118
.long 0xD3B24006, 0x1802651A
.long 0xD3B24008, 0x1802691C
.long 0xD3B2400A, 0x18026D1E
.long 0xBEC41E3A
.long 0x7E600304
.long 0x7E620305
.long 0x7E640306
.long 0x7E660307
.long 0x7E680308
.long 0x7E6A0309
.long 0x7E6C030A
.long 0x7E6E030B
.long 0x8E468220
.long 0x800C460C
.long 0x820D800D
.long 0xE07C1000, 0x8003300D
.long 0xE07C1010, 0x8003340D
.long 0xD0CC0030, 0x0001003E
.long 0xD1000020, 0x00C240F2
.long 0xD1000021, 0x00C242F2
.long 0xD3B14038, 0x18027120
.long 0xD0CC0030, 0x0001003E
.long 0xD1000022, 0x00C244F2
.long 0xD1000023, 0x00C246F2
.long 0xD3B1403A, 0x18027522
.long 0xD0CC0030, 0x0001003E
.long 0xD1000024, 0x00C248F2
.long 0xD1000025, 0x00C24AF2
.long 0xD3B1403C, 0x18027924
.long 0xD0CC0030, 0x0001003E
.long 0xD1000026, 0x00C24CF2
.long 0xD1000027, 0x00C24EF2
.long 0xD3B1403E, 0x18027D26
.long 0xD3B24004, 0x18027118
.long 0xD3B24006, 0x1802751A
.long 0xD3B24008, 0x1802791C
.long 0xD3B2400A, 0x18027D1E
.long 0xBEC41E3A
.long 0x7E700304
.long 0x7E720305
.long 0x7E740306
.long 0x7E760307
.long 0x7E780308
.long 0x7E7A0309
.long 0x7E7C030A
.long 0x7E7E030B
.long 0x8E468220
	;; [unrolled: 34-line block ×3, first 2 shown]
.long 0x800C460C
.long 0x820D800D
.long 0xE07C1000, 0x8003400D
.long 0xE07C1010, 0x8003440D
.long 0xBF800000
.long 0x924602FF, 0x00000100
.long 0xD135000F, 0x00008D00
	;; [unrolled: 3-line block ×3, first 2 shown]
.long 0xE05C1000, 0x800F2010
.long 0xE05C1010, 0x800F2410
.long 0x7E5003C0
.long 0x7E5203C4
	;; [unrolled: 1-line block ×66, first 2 shown]
.long 0xD0CC0030, 0x0001003E
.long 0xD1000020, 0x00C240F2
	;; [unrolled: 1-line block ×20, first 2 shown]
.long 0xBEC41E3A
.long 0x7E500304
	;; [unrolled: 1-line block ×9, first 2 shown]
.long 0x9246FF20, 0x00000074
.long 0x800C460C
.long 0x820D800D
.long 0xE07C1000, 0x8003280D
.long 0xE07C1010, 0x80032C0D
.long 0xD0CC0030, 0x0001003E
.long 0xD1000020, 0x00C240F2
.long 0xD1000021, 0x00C242F2
.long 0xD3B14030, 0x18026120
.long 0xD0CC0030, 0x0001003E
.long 0xD1000022, 0x00C244F2
.long 0xD1000023, 0x00C246F2
.long 0xD3B14032, 0x18026522
.long 0xD0CC0030, 0x0001003E
.long 0xD1000024, 0x00C248F2
.long 0xD1000025, 0x00C24AF2
.long 0xD3B14034, 0x18026924
.long 0xD0CC0030, 0x0001003E
.long 0xD1000026, 0x00C24CF2
.long 0xD1000027, 0x00C24EF2
.long 0xD3B14036, 0x18026D26
.long 0xD3B24004, 0x18026118
.long 0xD3B24006, 0x1802651A
.long 0xD3B24008, 0x1802691C
.long 0xD3B2400A, 0x18026D1E
.long 0xBEC41E3A
.long 0x7E600304
.long 0x7E620305
.long 0x7E640306
.long 0x7E660307
.long 0x7E680308
.long 0x7E6A0309
.long 0x7E6C030A
.long 0x7E6E030B
.long 0x8E468220
.long 0x800C460C
.long 0x820D800D
.long 0xE07C1000, 0x8003300D
.long 0xE07C1010, 0x8003340D
.long 0xD0CC0030, 0x0001003E
.long 0xD1000020, 0x00C240F2
.long 0xD1000021, 0x00C242F2
.long 0xD3B14038, 0x18027120
.long 0xD0CC0030, 0x0001003E
.long 0xD1000022, 0x00C244F2
.long 0xD1000023, 0x00C246F2
.long 0xD3B1403A, 0x18027522
.long 0xD0CC0030, 0x0001003E
.long 0xD1000024, 0x00C248F2
.long 0xD1000025, 0x00C24AF2
.long 0xD3B1403C, 0x18027924
.long 0xD0CC0030, 0x0001003E
.long 0xD1000026, 0x00C24CF2
.long 0xD1000027, 0x00C24EF2
.long 0xD3B1403E, 0x18027D26
.long 0xD3B24004, 0x18027118
.long 0xD3B24006, 0x1802751A
.long 0xD3B24008, 0x1802791C
.long 0xD3B2400A, 0x18027D1E
.long 0xBEC41E3A
.long 0x7E700304
.long 0x7E720305
.long 0x7E740306
.long 0x7E760307
.long 0x7E780308
.long 0x7E7A0309
.long 0x7E7C030A
.long 0x7E7E030B
.long 0x8E468220
.long 0x800C460C
.long 0x820D800D
.long 0xE07C1000, 0x8003380D
.long 0xE07C1010, 0x80033C0D
.long 0xD0CC0030, 0x0001003E
.long 0xD1000020, 0x00C240F2
.long 0xD1000021, 0x00C242F2
.long 0xD3B14040, 0x18028120
.long 0xD0CC0030, 0x0001003E
.long 0xD1000022, 0x00C244F2
.long 0xD1000023, 0x00C246F2
.long 0xD3B14042, 0x18028522
.long 0xD0CC0030, 0x0001003E
.long 0xD1000024, 0x00C248F2
.long 0xD1000025, 0x00C24AF2
.long 0xD3B14044, 0x18028924
.long 0xD0CC0030, 0x0001003E
.long 0xD1000026, 0x00C24CF2
.long 0xD1000027, 0x00C24EF2
.long 0xD3B14046, 0x18028D26
.long 0xD3B24004, 0x18028118
.long 0xD3B24006, 0x1802851A
.long 0xD3B24008, 0x1802891C
.long 0xD3B2400A, 0x18028D1E
.long 0xBEC41E3A
.long 0x7E800304
.long 0x7E820305
.long 0x7E840306
.long 0x7E860307
.long 0x7E880308
.long 0x7E8A0309
.long 0x7E8C030A
.long 0x7E8E030B
.long 0x8E468220
.long 0x800C460C
.long 0x820D800D
.long 0xE07C1000, 0x8003400D
.long 0xE07C1010, 0x8003440D
.long 0xBF800000
.long 0x924602FF, 0x00000100
.long 0xD135000F, 0x00008D00
	;; [unrolled: 3-line block ×3, first 2 shown]
.long 0xE05C1000, 0x800F2010
.long 0xE05C1010, 0x800F2410
.long 0x7E5003E0
.long 0x7E5203E4
	;; [unrolled: 1-line block ×66, first 2 shown]
.long 0xD0CC0030, 0x0001003E
.long 0xD1000020, 0x00C240F2
	;; [unrolled: 1-line block ×20, first 2 shown]
.long 0xBEC41E3A
.long 0x7E500304
	;; [unrolled: 1-line block ×9, first 2 shown]
.long 0x9246FF20, 0x00000074
.long 0x800C460C
.long 0x820D800D
.long 0xE07C1000, 0x8003280D
.long 0xE07C1010, 0x80032C0D
.long 0xD0CC0030, 0x0001003E
.long 0xD1000020, 0x00C240F2
.long 0xD1000021, 0x00C242F2
.long 0xD3B14030, 0x18026120
.long 0xD0CC0030, 0x0001003E
.long 0xD1000022, 0x00C244F2
.long 0xD1000023, 0x00C246F2
.long 0xD3B14032, 0x18026522
.long 0xD0CC0030, 0x0001003E
.long 0xD1000024, 0x00C248F2
.long 0xD1000025, 0x00C24AF2
.long 0xD3B14034, 0x18026924
.long 0xD0CC0030, 0x0001003E
.long 0xD1000026, 0x00C24CF2
.long 0xD1000027, 0x00C24EF2
.long 0xD3B14036, 0x18026D26
.long 0xD3B24004, 0x18026118
.long 0xD3B24006, 0x1802651A
.long 0xD3B24008, 0x1802691C
.long 0xD3B2400A, 0x18026D1E
.long 0xBEC41E3A
.long 0x7E600304
.long 0x7E620305
.long 0x7E640306
.long 0x7E660307
.long 0x7E680308
.long 0x7E6A0309
.long 0x7E6C030A
.long 0x7E6E030B
.long 0x8E468220
.long 0x800C460C
.long 0x820D800D
.long 0xE07C1000, 0x8003300D
.long 0xE07C1010, 0x8003340D
.long 0xD0CC0030, 0x0001003E
.long 0xD1000020, 0x00C240F2
.long 0xD1000021, 0x00C242F2
.long 0xD3B14038, 0x18027120
.long 0xD0CC0030, 0x0001003E
.long 0xD1000022, 0x00C244F2
.long 0xD1000023, 0x00C246F2
.long 0xD3B1403A, 0x18027522
.long 0xD0CC0030, 0x0001003E
.long 0xD1000024, 0x00C248F2
.long 0xD1000025, 0x00C24AF2
.long 0xD3B1403C, 0x18027924
.long 0xD0CC0030, 0x0001003E
.long 0xD1000026, 0x00C24CF2
.long 0xD1000027, 0x00C24EF2
.long 0xD3B1403E, 0x18027D26
.long 0xD3B24004, 0x18027118
.long 0xD3B24006, 0x1802751A
.long 0xD3B24008, 0x1802791C
.long 0xD3B2400A, 0x18027D1E
.long 0xBEC41E3A
.long 0x7E700304
.long 0x7E720305
.long 0x7E740306
.long 0x7E760307
.long 0x7E780308
.long 0x7E7A0309
.long 0x7E7C030A
.long 0x7E7E030B
.long 0x8E468220
	;; [unrolled: 34-line block ×3, first 2 shown]
.long 0x800C460C
.long 0x820D800D
.long 0xE07C1000, 0x8003400D
.long 0xE07C1010, 0x8003440D
.long 0xBF800000
.long 0xBF824194
.long 0x7E8202FF, 0x80000000
.long 0xD0C90046, 0x00002900
	;; [unrolled: 1-line block ×3, first 2 shown]
.long 0x86CA4A46
.long 0x924602FF, 0x00000100
.long 0xD135000E, 0x00008D00
.long 0x241C1C82
.long 0xD100000E, 0x012A1D41
.long 0xBF8CC07F
.long 0xBF8A0000
.long 0xD9FE0000, 0x1000000E
.long 0xD9FE0010, 0x1400000E
.long 0x241E0082
.long 0xE05C1000, 0x800F180F
.long 0xE05C1010, 0x800F1C0F
	;; [unrolled: 1-line block ×9, first 2 shown]
.long 0x86CA4A46
.long 0x924602FF, 0x00000100
.long 0xD1350029, 0x00008D00
.long 0x24525282
.long 0xD1000029, 0x012A5341
.long 0x24540082
.long 0xD1FE0028, 0x020A0103
.long 0xD1000028, 0x012A5141
.long 0xD1196A01, 0x00010301
.long 0xD1340002, 0x00004502
.long 0xD1340003, 0x00004103
.long 0xD0C90046, 0x00002900
.long 0xD0C9004A, 0x00002B01
.long 0x86CA4A46
.long 0x924602FF, 0x00000100
.long 0xD135002C, 0x00008D00
.long 0x24585882
.long 0xD100002C, 0x012A5941
.long 0x245A0082
.long 0xD1FE002B, 0x020A0103
.long 0xD100002B, 0x012A5741
.long 0xD1196A01, 0x00010301
.long 0xD1340002, 0x00004502
.long 0xD1340003, 0x00004103
.long 0xD0C90046, 0x00002900
.long 0xD0C9004A, 0x00002B01
	;; [unrolled: 13-line block ×3, first 2 shown]
.long 0xD3D84025, 0x18000114
.long 0xD3D84026, 0x18000118
	;; [unrolled: 1-line block ×27, first 2 shown]
.long 0xBF800001
.long 0x0A404028
	;; [unrolled: 1-line block ×34, first 2 shown]
.long 0xD0CC0030, 0x0001003E
.long 0xD1000018, 0x00C230F2
.long 0xD1000019, 0x00C232F2
.long 0xD3B14020, 0x18024118
.long 0xD0CC0030, 0x0001003E
.long 0xD100001A, 0x00C234F2
.long 0xD100001B, 0x00C236F2
.long 0xD3B14022, 0x1802451A
.long 0xD0CC0030, 0x0001003E
.long 0xD100001C, 0x00C238F2
.long 0xD100001D, 0x00C23AF2
.long 0xD3B14024, 0x1802491C
.long 0xD0CC0030, 0x0001003E
.long 0xD100001E, 0x00C23CF2
.long 0xD100001F, 0x00C23EF2
.long 0xD3B14026, 0x18024D1E
.long 0xD3B24004, 0x18024110
.long 0xD3B24006, 0x18024512
.long 0xD3B24008, 0x18024914
.long 0xD3B2400A, 0x18024D16
.long 0xBEC41E3A
.long 0x7E400304
.long 0x7E420305
.long 0x7E440306
.long 0x7E460307
.long 0x7E480308
.long 0x7E4A0309
.long 0x7E4C030A
.long 0x7E4E030B
.long 0xE07C1000, 0x8003200D
.long 0xE07C1010, 0x8003240D
.long 0xD0CC0030, 0x0001003E
.long 0xD1000018, 0x00C230F2
.long 0xD1000019, 0x00C232F2
.long 0xD3B14030, 0x18026118
.long 0xD0CC0030, 0x0001003E
.long 0xD100001A, 0x00C234F2
.long 0xD100001B, 0x00C236F2
.long 0xD3B14032, 0x1802651A
.long 0xD0CC0030, 0x0001003E
.long 0xD100001C, 0x00C238F2
.long 0xD100001D, 0x00C23AF2
.long 0xD3B14034, 0x1802691C
.long 0xD0CC0030, 0x0001003E
.long 0xD100001E, 0x00C23CF2
.long 0xD100001F, 0x00C23EF2
.long 0xD3B14036, 0x18026D1E
.long 0xD3B24004, 0x18026110
.long 0xD3B24006, 0x18026512
.long 0xD3B24008, 0x18026914
.long 0xD3B2400A, 0x18026D16
.long 0xBEC41E3A
.long 0x7E600304
.long 0x7E620305
.long 0x7E640306
.long 0x7E660307
.long 0x7E680308
.long 0x7E6A0309
.long 0x7E6C030A
.long 0x7E6E030B
.long 0xE07C1000, 0x80033028
.long 0xE07C1010, 0x80033428
	;; [unrolled: 31-line block ×4, first 2 shown]
.long 0xBF800000
.long 0x7E8202FF, 0x80000000
.long 0xD1196A01, 0x00013B01
.long 0x92469D22
.long 0xD1340002, 0x00008D02
.long 0x92469D20
.long 0xD1340003, 0x00008D03
.long 0xD0C90046, 0x00002900
	;; [unrolled: 1-line block ×3, first 2 shown]
.long 0x86CA4A46
.long 0x924602FF, 0x00000100
.long 0xD135000E, 0x00008D00
.long 0x241C1C82
.long 0xD100000E, 0x012A1D41
.long 0xD9FE0000, 0x1000000E
	;; [unrolled: 1-line block ×3, first 2 shown]
.long 0x241E0082
.long 0xE05C1000, 0x800F180F
.long 0xE05C1010, 0x800F1C0F
	;; [unrolled: 1-line block ×9, first 2 shown]
.long 0x86CA4A46
.long 0x924602FF, 0x00000100
.long 0xD1350029, 0x00008D00
.long 0x24525282
.long 0xD1000029, 0x012A5341
.long 0x24540082
.long 0xD1FE0028, 0x020A0103
.long 0xD1000028, 0x012A5141
.long 0xD1196A01, 0x00010301
.long 0xD1340002, 0x00004502
.long 0xD1340003, 0x00004103
.long 0xD0C90046, 0x00002900
.long 0xD0C9004A, 0x00002B01
.long 0x86CA4A46
.long 0x924602FF, 0x00000100
.long 0xD135002C, 0x00008D00
.long 0x24585882
.long 0xD100002C, 0x012A5941
.long 0x245A0082
.long 0xD1FE002B, 0x020A0103
.long 0xD100002B, 0x012A5741
.long 0xD1196A01, 0x00010301
.long 0xD1340002, 0x00004502
.long 0xD1340003, 0x00004103
.long 0xD0C90046, 0x00002900
.long 0xD0C9004A, 0x00002B01
	;; [unrolled: 13-line block ×3, first 2 shown]
.long 0xD3D84025, 0x18000134
.long 0xD3D84026, 0x18000138
	;; [unrolled: 1-line block ×27, first 2 shown]
.long 0xBF800001
.long 0x0A404028
.long 0x0A424228
.long 0x0A444428
.long 0x0A464628
.long 0x0A484828
.long 0x0A4A4A28
.long 0x0A4C4C28
.long 0x0A4E4E28
.long 0x0A606028
.long 0x0A626228
.long 0x0A646428
.long 0x0A666628
.long 0x0A686828
.long 0x0A6A6A28
.long 0x0A6C6C28
.long 0x0A6E6E28
.long 0x0A707028
.long 0x0A727228
.long 0x0A747428
.long 0x0A767628
.long 0x0A787828
.long 0x0A7A7A28
.long 0x0A7C7C28
.long 0x0A7E7E28
.long 0x0A909028
.long 0x0A929228
.long 0x0A949428
.long 0x0A969628
.long 0x0A989828
.long 0x0A9A9A28
.long 0x0A9C9C28
.long 0x0A9E9E28
.long 0xBF8C0000
.long 0xD0CC0030, 0x0001003E
.long 0xD1000018, 0x00C230F2
.long 0xD1000019, 0x00C232F2
.long 0xD3B14020, 0x18024118
.long 0xD0CC0030, 0x0001003E
.long 0xD100001A, 0x00C234F2
.long 0xD100001B, 0x00C236F2
.long 0xD3B14022, 0x1802451A
.long 0xD0CC0030, 0x0001003E
.long 0xD100001C, 0x00C238F2
.long 0xD100001D, 0x00C23AF2
.long 0xD3B14024, 0x1802491C
.long 0xD0CC0030, 0x0001003E
.long 0xD100001E, 0x00C23CF2
.long 0xD100001F, 0x00C23EF2
.long 0xD3B14026, 0x18024D1E
.long 0xD3B24004, 0x18024110
.long 0xD3B24006, 0x18024512
.long 0xD3B24008, 0x18024914
.long 0xD3B2400A, 0x18024D16
.long 0xBEC41E3A
.long 0x7E400304
.long 0x7E420305
.long 0x7E440306
.long 0x7E460307
.long 0x7E480308
.long 0x7E4A0309
.long 0x7E4C030A
.long 0x7E4E030B
.long 0xE07C1000, 0x8003200D
.long 0xE07C1010, 0x8003240D
.long 0xD0CC0030, 0x0001003E
.long 0xD1000018, 0x00C230F2
.long 0xD1000019, 0x00C232F2
.long 0xD3B14030, 0x18026118
.long 0xD0CC0030, 0x0001003E
.long 0xD100001A, 0x00C234F2
.long 0xD100001B, 0x00C236F2
.long 0xD3B14032, 0x1802651A
.long 0xD0CC0030, 0x0001003E
.long 0xD100001C, 0x00C238F2
.long 0xD100001D, 0x00C23AF2
.long 0xD3B14034, 0x1802691C
.long 0xD0CC0030, 0x0001003E
.long 0xD100001E, 0x00C23CF2
.long 0xD100001F, 0x00C23EF2
.long 0xD3B14036, 0x18026D1E
.long 0xD3B24004, 0x18026110
.long 0xD3B24006, 0x18026512
.long 0xD3B24008, 0x18026914
.long 0xD3B2400A, 0x18026D16
.long 0xBEC41E3A
.long 0x7E600304
.long 0x7E620305
.long 0x7E640306
.long 0x7E660307
.long 0x7E680308
.long 0x7E6A0309
.long 0x7E6C030A
.long 0x7E6E030B
.long 0xE07C1000, 0x80033028
.long 0xE07C1010, 0x80033428
	;; [unrolled: 31-line block ×4, first 2 shown]
.long 0xBF800000
.long 0x7E8202FF, 0x80000000
.long 0xD1196A01, 0x00013B01
.long 0x92469D22
.long 0xD1340002, 0x00008D02
.long 0x92469D20
.long 0xD1340003, 0x00008D03
.long 0xD0C90046, 0x00002900
	;; [unrolled: 1-line block ×3, first 2 shown]
.long 0x86CA4A46
.long 0x924602FF, 0x00000100
.long 0xD135000E, 0x00008D00
.long 0x241C1C82
.long 0xD100000E, 0x012A1D41
.long 0xD9FE0000, 0x1000000E
	;; [unrolled: 1-line block ×3, first 2 shown]
.long 0x241E0082
.long 0xE05C1000, 0x800F180F
.long 0xE05C1010, 0x800F1C0F
	;; [unrolled: 1-line block ×9, first 2 shown]
.long 0x86CA4A46
.long 0x924602FF, 0x00000100
.long 0xD1350029, 0x00008D00
.long 0x24525282
.long 0xD1000029, 0x012A5341
.long 0x24540082
.long 0xD1FE0028, 0x020A0103
.long 0xD1000028, 0x012A5141
.long 0xD1196A01, 0x00010301
.long 0xD1340002, 0x00004502
.long 0xD1340003, 0x00004103
.long 0xD0C90046, 0x00002900
.long 0xD0C9004A, 0x00002B01
.long 0x86CA4A46
.long 0x924602FF, 0x00000100
.long 0xD135002C, 0x00008D00
.long 0x24585882
.long 0xD100002C, 0x012A5941
.long 0x245A0082
.long 0xD1FE002B, 0x020A0103
.long 0xD100002B, 0x012A5741
.long 0xD1196A01, 0x00010301
.long 0xD1340002, 0x00004502
.long 0xD1340003, 0x00004103
.long 0xD0C90046, 0x00002900
.long 0xD0C9004A, 0x00002B01
	;; [unrolled: 13-line block ×3, first 2 shown]
.long 0xD3D84025, 0x18000154
.long 0xD3D84026, 0x18000158
	;; [unrolled: 1-line block ×27, first 2 shown]
.long 0xBF800001
.long 0x0A404028
	;; [unrolled: 1-line block ×34, first 2 shown]
.long 0xD0CC0030, 0x0001003E
.long 0xD1000018, 0x00C230F2
.long 0xD1000019, 0x00C232F2
.long 0xD3B14020, 0x18024118
.long 0xD0CC0030, 0x0001003E
.long 0xD100001A, 0x00C234F2
.long 0xD100001B, 0x00C236F2
.long 0xD3B14022, 0x1802451A
.long 0xD0CC0030, 0x0001003E
.long 0xD100001C, 0x00C238F2
.long 0xD100001D, 0x00C23AF2
.long 0xD3B14024, 0x1802491C
.long 0xD0CC0030, 0x0001003E
.long 0xD100001E, 0x00C23CF2
.long 0xD100001F, 0x00C23EF2
.long 0xD3B14026, 0x18024D1E
.long 0xD3B24004, 0x18024110
.long 0xD3B24006, 0x18024512
.long 0xD3B24008, 0x18024914
.long 0xD3B2400A, 0x18024D16
.long 0xBEC41E3A
.long 0x7E400304
.long 0x7E420305
.long 0x7E440306
.long 0x7E460307
.long 0x7E480308
.long 0x7E4A0309
.long 0x7E4C030A
.long 0x7E4E030B
.long 0xE07C1000, 0x8003200D
.long 0xE07C1010, 0x8003240D
.long 0xD0CC0030, 0x0001003E
.long 0xD1000018, 0x00C230F2
.long 0xD1000019, 0x00C232F2
.long 0xD3B14030, 0x18026118
.long 0xD0CC0030, 0x0001003E
.long 0xD100001A, 0x00C234F2
.long 0xD100001B, 0x00C236F2
.long 0xD3B14032, 0x1802651A
.long 0xD0CC0030, 0x0001003E
.long 0xD100001C, 0x00C238F2
.long 0xD100001D, 0x00C23AF2
.long 0xD3B14034, 0x1802691C
.long 0xD0CC0030, 0x0001003E
.long 0xD100001E, 0x00C23CF2
.long 0xD100001F, 0x00C23EF2
.long 0xD3B14036, 0x18026D1E
.long 0xD3B24004, 0x18026110
.long 0xD3B24006, 0x18026512
.long 0xD3B24008, 0x18026914
.long 0xD3B2400A, 0x18026D16
.long 0xBEC41E3A
.long 0x7E600304
.long 0x7E620305
.long 0x7E640306
.long 0x7E660307
.long 0x7E680308
.long 0x7E6A0309
.long 0x7E6C030A
.long 0x7E6E030B
.long 0xE07C1000, 0x80033028
.long 0xE07C1010, 0x80033428
	;; [unrolled: 31-line block ×4, first 2 shown]
.long 0xBF800000
.long 0x7E8202FF, 0x80000000
.long 0xD1196A01, 0x00013B01
.long 0x92469D22
.long 0xD1340002, 0x00008D02
.long 0x92469D20
.long 0xD1340003, 0x00008D03
.long 0xD0C90046, 0x00002900
	;; [unrolled: 1-line block ×3, first 2 shown]
.long 0x86CA4A46
.long 0x924602FF, 0x00000100
.long 0xD135000E, 0x00008D00
.long 0x241C1C82
.long 0xD100000E, 0x012A1D41
.long 0xD9FE0000, 0x1000000E
	;; [unrolled: 1-line block ×3, first 2 shown]
.long 0x241E0082
.long 0xE05C1000, 0x800F180F
.long 0xE05C1010, 0x800F1C0F
	;; [unrolled: 1-line block ×9, first 2 shown]
.long 0x86CA4A46
.long 0x924602FF, 0x00000100
.long 0xD1350029, 0x00008D00
.long 0x24525282
.long 0xD1000029, 0x012A5341
.long 0x24540082
.long 0xD1FE0028, 0x020A0103
.long 0xD1000028, 0x012A5141
.long 0xD1196A01, 0x00010301
.long 0xD1340002, 0x00004502
.long 0xD1340003, 0x00004103
.long 0xD0C90046, 0x00002900
.long 0xD0C9004A, 0x00002B01
.long 0x86CA4A46
.long 0x924602FF, 0x00000100
.long 0xD135002C, 0x00008D00
.long 0x24585882
.long 0xD100002C, 0x012A5941
.long 0x245A0082
.long 0xD1FE002B, 0x020A0103
.long 0xD100002B, 0x012A5741
.long 0xD1196A01, 0x00010301
.long 0xD1340002, 0x00004502
.long 0xD1340003, 0x00004103
.long 0xD0C90046, 0x00002900
.long 0xD0C9004A, 0x00002B01
	;; [unrolled: 13-line block ×3, first 2 shown]
.long 0xD3D84025, 0x18000174
.long 0xD3D84026, 0x18000178
	;; [unrolled: 1-line block ×27, first 2 shown]
.long 0xBF800001
.long 0x0A404028
	;; [unrolled: 1-line block ×34, first 2 shown]
.long 0xD0CC0030, 0x0001003E
.long 0xD1000018, 0x00C230F2
.long 0xD1000019, 0x00C232F2
.long 0xD3B14020, 0x18024118
.long 0xD0CC0030, 0x0001003E
.long 0xD100001A, 0x00C234F2
.long 0xD100001B, 0x00C236F2
.long 0xD3B14022, 0x1802451A
.long 0xD0CC0030, 0x0001003E
.long 0xD100001C, 0x00C238F2
.long 0xD100001D, 0x00C23AF2
.long 0xD3B14024, 0x1802491C
.long 0xD0CC0030, 0x0001003E
.long 0xD100001E, 0x00C23CF2
.long 0xD100001F, 0x00C23EF2
.long 0xD3B14026, 0x18024D1E
.long 0xD3B24004, 0x18024110
.long 0xD3B24006, 0x18024512
.long 0xD3B24008, 0x18024914
.long 0xD3B2400A, 0x18024D16
.long 0xBEC41E3A
.long 0x7E400304
.long 0x7E420305
.long 0x7E440306
.long 0x7E460307
.long 0x7E480308
.long 0x7E4A0309
.long 0x7E4C030A
.long 0x7E4E030B
.long 0xE07C1000, 0x8003200D
.long 0xE07C1010, 0x8003240D
.long 0xD0CC0030, 0x0001003E
.long 0xD1000018, 0x00C230F2
.long 0xD1000019, 0x00C232F2
.long 0xD3B14030, 0x18026118
.long 0xD0CC0030, 0x0001003E
.long 0xD100001A, 0x00C234F2
.long 0xD100001B, 0x00C236F2
.long 0xD3B14032, 0x1802651A
.long 0xD0CC0030, 0x0001003E
.long 0xD100001C, 0x00C238F2
.long 0xD100001D, 0x00C23AF2
.long 0xD3B14034, 0x1802691C
.long 0xD0CC0030, 0x0001003E
.long 0xD100001E, 0x00C23CF2
.long 0xD100001F, 0x00C23EF2
.long 0xD3B14036, 0x18026D1E
.long 0xD3B24004, 0x18026110
.long 0xD3B24006, 0x18026512
.long 0xD3B24008, 0x18026914
.long 0xD3B2400A, 0x18026D16
.long 0xBEC41E3A
.long 0x7E600304
.long 0x7E620305
.long 0x7E640306
.long 0x7E660307
.long 0x7E680308
.long 0x7E6A0309
.long 0x7E6C030A
.long 0x7E6E030B
.long 0xE07C1000, 0x80033028
.long 0xE07C1010, 0x80033428
	;; [unrolled: 31-line block ×4, first 2 shown]
.long 0xBF800000
.long 0x7E8202FF, 0x80000000
.long 0xD1196A01, 0x00013B01
.long 0x92469D22
.long 0xD1340002, 0x00008D02
.long 0x92469D20
.long 0xD1340003, 0x00008D03
.long 0xD0C90046, 0x00002900
	;; [unrolled: 1-line block ×3, first 2 shown]
.long 0x86CA4A46
.long 0x924602FF, 0x00000100
.long 0xD135000E, 0x00008D00
.long 0x241C1C82
.long 0xD100000E, 0x012A1D41
.long 0xD9FE0000, 0x1000000E
	;; [unrolled: 1-line block ×3, first 2 shown]
.long 0x241E0082
.long 0xE05C1000, 0x800F180F
.long 0xE05C1010, 0x800F1C0F
	;; [unrolled: 1-line block ×9, first 2 shown]
.long 0x86CA4A46
.long 0x924602FF, 0x00000100
.long 0xD1350029, 0x00008D00
.long 0x24525282
.long 0xD1000029, 0x012A5341
.long 0x24540082
.long 0xD1FE0028, 0x020A0103
.long 0xD1000028, 0x012A5141
.long 0xD1196A01, 0x00010301
.long 0xD1340002, 0x00004502
.long 0xD1340003, 0x00004103
.long 0xD0C90046, 0x00002900
.long 0xD0C9004A, 0x00002B01
.long 0x86CA4A46
.long 0x924602FF, 0x00000100
.long 0xD135002C, 0x00008D00
.long 0x24585882
.long 0xD100002C, 0x012A5941
.long 0x245A0082
.long 0xD1FE002B, 0x020A0103
.long 0xD100002B, 0x012A5741
.long 0xD1196A01, 0x00010301
.long 0xD1340002, 0x00004502
.long 0xD1340003, 0x00004103
.long 0xD0C90046, 0x00002900
.long 0xD0C9004A, 0x00002B01
	;; [unrolled: 13-line block ×3, first 2 shown]
.long 0xD3D84025, 0x18000194
.long 0xD3D84026, 0x18000198
	;; [unrolled: 1-line block ×27, first 2 shown]
.long 0xBF800001
.long 0x0A404028
	;; [unrolled: 1-line block ×34, first 2 shown]
.long 0xD0CC0030, 0x0001003E
.long 0xD1000018, 0x00C230F2
.long 0xD1000019, 0x00C232F2
.long 0xD3B14020, 0x18024118
.long 0xD0CC0030, 0x0001003E
.long 0xD100001A, 0x00C234F2
.long 0xD100001B, 0x00C236F2
.long 0xD3B14022, 0x1802451A
.long 0xD0CC0030, 0x0001003E
.long 0xD100001C, 0x00C238F2
.long 0xD100001D, 0x00C23AF2
.long 0xD3B14024, 0x1802491C
.long 0xD0CC0030, 0x0001003E
.long 0xD100001E, 0x00C23CF2
.long 0xD100001F, 0x00C23EF2
.long 0xD3B14026, 0x18024D1E
.long 0xD3B24004, 0x18024110
.long 0xD3B24006, 0x18024512
.long 0xD3B24008, 0x18024914
.long 0xD3B2400A, 0x18024D16
.long 0xBEC41E3A
.long 0x7E400304
.long 0x7E420305
.long 0x7E440306
.long 0x7E460307
.long 0x7E480308
.long 0x7E4A0309
.long 0x7E4C030A
.long 0x7E4E030B
.long 0xE07C1000, 0x8003200D
.long 0xE07C1010, 0x8003240D
.long 0xD0CC0030, 0x0001003E
.long 0xD1000018, 0x00C230F2
.long 0xD1000019, 0x00C232F2
.long 0xD3B14030, 0x18026118
.long 0xD0CC0030, 0x0001003E
.long 0xD100001A, 0x00C234F2
.long 0xD100001B, 0x00C236F2
.long 0xD3B14032, 0x1802651A
.long 0xD0CC0030, 0x0001003E
.long 0xD100001C, 0x00C238F2
.long 0xD100001D, 0x00C23AF2
.long 0xD3B14034, 0x1802691C
.long 0xD0CC0030, 0x0001003E
.long 0xD100001E, 0x00C23CF2
.long 0xD100001F, 0x00C23EF2
.long 0xD3B14036, 0x18026D1E
.long 0xD3B24004, 0x18026110
.long 0xD3B24006, 0x18026512
.long 0xD3B24008, 0x18026914
.long 0xD3B2400A, 0x18026D16
.long 0xBEC41E3A
.long 0x7E600304
.long 0x7E620305
.long 0x7E640306
.long 0x7E660307
.long 0x7E680308
.long 0x7E6A0309
.long 0x7E6C030A
.long 0x7E6E030B
.long 0xE07C1000, 0x80033028
.long 0xE07C1010, 0x80033428
	;; [unrolled: 31-line block ×4, first 2 shown]
.long 0xBF800000
.long 0x7E8202FF, 0x80000000
.long 0xD1196A01, 0x00013B01
.long 0x92469D22
.long 0xD1340002, 0x00008D02
.long 0x92469D20
.long 0xD1340003, 0x00008D03
.long 0xD0C90046, 0x00002900
.long 0xD0C9004A, 0x00002B01
.long 0x86CA4A46
.long 0x924602FF, 0x00000100
.long 0xD135000E, 0x00008D00
.long 0x241C1C82
.long 0xD100000E, 0x012A1D41
.long 0xD9FE0000, 0x1000000E
	;; [unrolled: 1-line block ×3, first 2 shown]
.long 0x241E0082
.long 0xE05C1000, 0x800F180F
.long 0xE05C1010, 0x800F1C0F
	;; [unrolled: 1-line block ×9, first 2 shown]
.long 0x86CA4A46
.long 0x924602FF, 0x00000100
.long 0xD1350029, 0x00008D00
.long 0x24525282
.long 0xD1000029, 0x012A5341
.long 0x24540082
.long 0xD1FE0028, 0x020A0103
.long 0xD1000028, 0x012A5141
.long 0xD1196A01, 0x00010301
.long 0xD1340002, 0x00004502
.long 0xD1340003, 0x00004103
.long 0xD0C90046, 0x00002900
.long 0xD0C9004A, 0x00002B01
.long 0x86CA4A46
.long 0x924602FF, 0x00000100
.long 0xD135002C, 0x00008D00
.long 0x24585882
.long 0xD100002C, 0x012A5941
.long 0x245A0082
.long 0xD1FE002B, 0x020A0103
.long 0xD100002B, 0x012A5741
.long 0xD1196A01, 0x00010301
.long 0xD1340002, 0x00004502
.long 0xD1340003, 0x00004103
.long 0xD0C90046, 0x00002900
.long 0xD0C9004A, 0x00002B01
	;; [unrolled: 13-line block ×3, first 2 shown]
.long 0xD3D84025, 0x180001B4
.long 0xD3D84026, 0x180001B8
	;; [unrolled: 1-line block ×27, first 2 shown]
.long 0xBF800001
.long 0x0A404028
.long 0x0A424228
.long 0x0A444428
.long 0x0A464628
.long 0x0A484828
.long 0x0A4A4A28
.long 0x0A4C4C28
.long 0x0A4E4E28
.long 0x0A606028
.long 0x0A626228
.long 0x0A646428
.long 0x0A666628
.long 0x0A686828
.long 0x0A6A6A28
.long 0x0A6C6C28
.long 0x0A6E6E28
.long 0x0A707028
.long 0x0A727228
.long 0x0A747428
.long 0x0A767628
.long 0x0A787828
.long 0x0A7A7A28
.long 0x0A7C7C28
.long 0x0A7E7E28
.long 0x0A909028
.long 0x0A929228
.long 0x0A949428
.long 0x0A969628
.long 0x0A989828
.long 0x0A9A9A28
.long 0x0A9C9C28
.long 0x0A9E9E28
.long 0xBF8C0000
.long 0xD0CC0030, 0x0001003E
.long 0xD1000018, 0x00C230F2
.long 0xD1000019, 0x00C232F2
.long 0xD3B14020, 0x18024118
.long 0xD0CC0030, 0x0001003E
.long 0xD100001A, 0x00C234F2
.long 0xD100001B, 0x00C236F2
.long 0xD3B14022, 0x1802451A
.long 0xD0CC0030, 0x0001003E
.long 0xD100001C, 0x00C238F2
.long 0xD100001D, 0x00C23AF2
.long 0xD3B14024, 0x1802491C
.long 0xD0CC0030, 0x0001003E
.long 0xD100001E, 0x00C23CF2
.long 0xD100001F, 0x00C23EF2
.long 0xD3B14026, 0x18024D1E
.long 0xD3B24004, 0x18024110
.long 0xD3B24006, 0x18024512
.long 0xD3B24008, 0x18024914
.long 0xD3B2400A, 0x18024D16
.long 0xBEC41E3A
.long 0x7E400304
.long 0x7E420305
.long 0x7E440306
.long 0x7E460307
.long 0x7E480308
.long 0x7E4A0309
.long 0x7E4C030A
.long 0x7E4E030B
.long 0xE07C1000, 0x8003200D
.long 0xE07C1010, 0x8003240D
.long 0xD0CC0030, 0x0001003E
.long 0xD1000018, 0x00C230F2
.long 0xD1000019, 0x00C232F2
.long 0xD3B14030, 0x18026118
.long 0xD0CC0030, 0x0001003E
.long 0xD100001A, 0x00C234F2
.long 0xD100001B, 0x00C236F2
.long 0xD3B14032, 0x1802651A
.long 0xD0CC0030, 0x0001003E
.long 0xD100001C, 0x00C238F2
.long 0xD100001D, 0x00C23AF2
.long 0xD3B14034, 0x1802691C
.long 0xD0CC0030, 0x0001003E
.long 0xD100001E, 0x00C23CF2
.long 0xD100001F, 0x00C23EF2
.long 0xD3B14036, 0x18026D1E
.long 0xD3B24004, 0x18026110
.long 0xD3B24006, 0x18026512
.long 0xD3B24008, 0x18026914
.long 0xD3B2400A, 0x18026D16
.long 0xBEC41E3A
.long 0x7E600304
.long 0x7E620305
.long 0x7E640306
.long 0x7E660307
.long 0x7E680308
.long 0x7E6A0309
.long 0x7E6C030A
.long 0x7E6E030B
.long 0xE07C1000, 0x80033028
.long 0xE07C1010, 0x80033428
.long 0xD0CC0030, 0x0001003E
.long 0xD1000018, 0x00C230F2
.long 0xD1000019, 0x00C232F2
.long 0xD3B14038, 0x18027118
.long 0xD0CC0030, 0x0001003E
.long 0xD100001A, 0x00C234F2
.long 0xD100001B, 0x00C236F2
.long 0xD3B1403A, 0x1802751A
.long 0xD0CC0030, 0x0001003E
.long 0xD100001C, 0x00C238F2
.long 0xD100001D, 0x00C23AF2
.long 0xD3B1403C, 0x1802791C
.long 0xD0CC0030, 0x0001003E
.long 0xD100001E, 0x00C23CF2
.long 0xD100001F, 0x00C23EF2
.long 0xD3B1403E, 0x18027D1E
.long 0xD3B24004, 0x18027110
.long 0xD3B24006, 0x18027512
.long 0xD3B24008, 0x18027914
.long 0xD3B2400A, 0x18027D16
.long 0xBEC41E3A
.long 0x7E700304
.long 0x7E720305
.long 0x7E740306
.long 0x7E760307
.long 0x7E780308
.long 0x7E7A0309
.long 0x7E7C030A
.long 0x7E7E030B
.long 0xE07C1000, 0x8003382B
.long 0xE07C1010, 0x80033C2B
.long 0xD0CC0030, 0x0001003E
.long 0xD1000018, 0x00C230F2
.long 0xD1000019, 0x00C232F2
.long 0xD3B14048, 0x18029118
.long 0xD0CC0030, 0x0001003E
.long 0xD100001A, 0x00C234F2
.long 0xD100001B, 0x00C236F2
.long 0xD3B1404A, 0x1802951A
.long 0xD0CC0030, 0x0001003E
.long 0xD100001C, 0x00C238F2
.long 0xD100001D, 0x00C23AF2
.long 0xD3B1404C, 0x1802991C
.long 0xD0CC0030, 0x0001003E
.long 0xD100001E, 0x00C23CF2
.long 0xD100001F, 0x00C23EF2
.long 0xD3B1404E, 0x18029D1E
.long 0xD3B24004, 0x18029110
.long 0xD3B24006, 0x18029512
.long 0xD3B24008, 0x18029914
.long 0xD3B2400A, 0x18029D16
.long 0xBEC41E3A
.long 0x7E900304
.long 0x7E920305
.long 0x7E940306
.long 0x7E960307
.long 0x7E980308
.long 0x7E9A0309
.long 0x7E9C030A
.long 0x7E9E030B
.long 0xE07C1000, 0x8003482E
.long 0xE07C1010, 0x80034C2E
.long 0xBF800000
.long 0x7E8202FF, 0x80000000
.long 0xD1196A01, 0x00013B01
.long 0x92469D22
.long 0xD1340002, 0x00008D02
.long 0x92469D20
.long 0xD1340003, 0x00008D03
.long 0xD0C90046, 0x00002900
	;; [unrolled: 1-line block ×3, first 2 shown]
.long 0x86CA4A46
.long 0x924602FF, 0x00000100
.long 0xD135000E, 0x00008D00
.long 0x241C1C82
.long 0xD100000E, 0x012A1D41
.long 0xD9FE0000, 0x1000000E
	;; [unrolled: 1-line block ×3, first 2 shown]
.long 0x241E0082
.long 0xE05C1000, 0x800F180F
.long 0xE05C1010, 0x800F1C0F
	;; [unrolled: 1-line block ×9, first 2 shown]
.long 0x86CA4A46
.long 0x924602FF, 0x00000100
.long 0xD1350029, 0x00008D00
.long 0x24525282
.long 0xD1000029, 0x012A5341
.long 0x24540082
.long 0xD1FE0028, 0x020A0103
.long 0xD1000028, 0x012A5141
.long 0xD1196A01, 0x00010301
.long 0xD1340002, 0x00004502
.long 0xD1340003, 0x00004103
.long 0xD0C90046, 0x00002900
.long 0xD0C9004A, 0x00002B01
.long 0x86CA4A46
.long 0x924602FF, 0x00000100
.long 0xD135002C, 0x00008D00
.long 0x24585882
.long 0xD100002C, 0x012A5941
.long 0x245A0082
.long 0xD1FE002B, 0x020A0103
.long 0xD100002B, 0x012A5741
.long 0xD1196A01, 0x00010301
.long 0xD1340002, 0x00004502
.long 0xD1340003, 0x00004103
.long 0xD0C90046, 0x00002900
.long 0xD0C9004A, 0x00002B01
	;; [unrolled: 13-line block ×3, first 2 shown]
.long 0xD3D84025, 0x180001D4
.long 0xD3D84026, 0x180001D8
	;; [unrolled: 1-line block ×27, first 2 shown]
.long 0xBF800001
.long 0x0A404028
	;; [unrolled: 1-line block ×34, first 2 shown]
.long 0xD0CC0030, 0x0001003E
.long 0xD1000018, 0x00C230F2
.long 0xD1000019, 0x00C232F2
.long 0xD3B14020, 0x18024118
.long 0xD0CC0030, 0x0001003E
.long 0xD100001A, 0x00C234F2
.long 0xD100001B, 0x00C236F2
.long 0xD3B14022, 0x1802451A
.long 0xD0CC0030, 0x0001003E
.long 0xD100001C, 0x00C238F2
.long 0xD100001D, 0x00C23AF2
.long 0xD3B14024, 0x1802491C
.long 0xD0CC0030, 0x0001003E
.long 0xD100001E, 0x00C23CF2
.long 0xD100001F, 0x00C23EF2
.long 0xD3B14026, 0x18024D1E
.long 0xD3B24004, 0x18024110
.long 0xD3B24006, 0x18024512
.long 0xD3B24008, 0x18024914
.long 0xD3B2400A, 0x18024D16
.long 0xBEC41E3A
.long 0x7E400304
.long 0x7E420305
.long 0x7E440306
.long 0x7E460307
.long 0x7E480308
.long 0x7E4A0309
.long 0x7E4C030A
.long 0x7E4E030B
.long 0xE07C1000, 0x8003200D
.long 0xE07C1010, 0x8003240D
.long 0xD0CC0030, 0x0001003E
.long 0xD1000018, 0x00C230F2
.long 0xD1000019, 0x00C232F2
.long 0xD3B14030, 0x18026118
.long 0xD0CC0030, 0x0001003E
.long 0xD100001A, 0x00C234F2
.long 0xD100001B, 0x00C236F2
.long 0xD3B14032, 0x1802651A
.long 0xD0CC0030, 0x0001003E
.long 0xD100001C, 0x00C238F2
.long 0xD100001D, 0x00C23AF2
.long 0xD3B14034, 0x1802691C
.long 0xD0CC0030, 0x0001003E
.long 0xD100001E, 0x00C23CF2
.long 0xD100001F, 0x00C23EF2
.long 0xD3B14036, 0x18026D1E
.long 0xD3B24004, 0x18026110
.long 0xD3B24006, 0x18026512
.long 0xD3B24008, 0x18026914
.long 0xD3B2400A, 0x18026D16
.long 0xBEC41E3A
.long 0x7E600304
.long 0x7E620305
.long 0x7E640306
.long 0x7E660307
.long 0x7E680308
.long 0x7E6A0309
.long 0x7E6C030A
.long 0x7E6E030B
.long 0xE07C1000, 0x80033028
.long 0xE07C1010, 0x80033428
	;; [unrolled: 31-line block ×4, first 2 shown]
.long 0xBF800000
.long 0x7E8202FF, 0x80000000
.long 0xD1196A01, 0x00013B01
.long 0x92469D22
.long 0xD1340002, 0x00008D02
.long 0x92469D20
.long 0xD1340003, 0x00008D03
.long 0xD0C90046, 0x00002900
	;; [unrolled: 1-line block ×3, first 2 shown]
.long 0x86CA4A46
.long 0x924602FF, 0x00000100
.long 0xD135000E, 0x00008D00
.long 0x241C1C82
.long 0xD100000E, 0x012A1D41
.long 0xD9FE0000, 0x1000000E
	;; [unrolled: 1-line block ×3, first 2 shown]
.long 0x241E0082
.long 0xE05C1000, 0x800F180F
.long 0xE05C1010, 0x800F1C0F
	;; [unrolled: 1-line block ×9, first 2 shown]
.long 0x86CA4A46
.long 0x924602FF, 0x00000100
.long 0xD1350029, 0x00008D00
.long 0x24525282
.long 0xD1000029, 0x012A5341
.long 0x24540082
.long 0xD1FE0028, 0x020A0103
.long 0xD1000028, 0x012A5141
.long 0xD1196A01, 0x00010301
.long 0xD1340002, 0x00004502
.long 0xD1340003, 0x00004103
.long 0xD0C90046, 0x00002900
.long 0xD0C9004A, 0x00002B01
.long 0x86CA4A46
.long 0x924602FF, 0x00000100
.long 0xD135002C, 0x00008D00
.long 0x24585882
.long 0xD100002C, 0x012A5941
.long 0x245A0082
.long 0xD1FE002B, 0x020A0103
.long 0xD100002B, 0x012A5741
.long 0xD1196A01, 0x00010301
.long 0xD1340002, 0x00004502
.long 0xD1340003, 0x00004103
.long 0xD0C90046, 0x00002900
.long 0xD0C9004A, 0x00002B01
	;; [unrolled: 13-line block ×3, first 2 shown]
.long 0xD3D84025, 0x180001F4
.long 0xD3D84026, 0x180001F8
	;; [unrolled: 1-line block ×27, first 2 shown]
.long 0xBF800001
.long 0x0A404028
	;; [unrolled: 1-line block ×34, first 2 shown]
.long 0xD0CC0030, 0x0001003E
.long 0xD1000018, 0x00C230F2
.long 0xD1000019, 0x00C232F2
.long 0xD3B14020, 0x18024118
.long 0xD0CC0030, 0x0001003E
.long 0xD100001A, 0x00C234F2
.long 0xD100001B, 0x00C236F2
.long 0xD3B14022, 0x1802451A
.long 0xD0CC0030, 0x0001003E
.long 0xD100001C, 0x00C238F2
.long 0xD100001D, 0x00C23AF2
.long 0xD3B14024, 0x1802491C
.long 0xD0CC0030, 0x0001003E
.long 0xD100001E, 0x00C23CF2
.long 0xD100001F, 0x00C23EF2
.long 0xD3B14026, 0x18024D1E
.long 0xD3B24004, 0x18024110
.long 0xD3B24006, 0x18024512
.long 0xD3B24008, 0x18024914
.long 0xD3B2400A, 0x18024D16
.long 0xBEC41E3A
.long 0x7E400304
.long 0x7E420305
.long 0x7E440306
.long 0x7E460307
.long 0x7E480308
.long 0x7E4A0309
.long 0x7E4C030A
.long 0x7E4E030B
.long 0xE07C1000, 0x8003200D
.long 0xE07C1010, 0x8003240D
.long 0xD0CC0030, 0x0001003E
.long 0xD1000018, 0x00C230F2
.long 0xD1000019, 0x00C232F2
.long 0xD3B14030, 0x18026118
.long 0xD0CC0030, 0x0001003E
.long 0xD100001A, 0x00C234F2
.long 0xD100001B, 0x00C236F2
.long 0xD3B14032, 0x1802651A
.long 0xD0CC0030, 0x0001003E
.long 0xD100001C, 0x00C238F2
.long 0xD100001D, 0x00C23AF2
.long 0xD3B14034, 0x1802691C
.long 0xD0CC0030, 0x0001003E
.long 0xD100001E, 0x00C23CF2
.long 0xD100001F, 0x00C23EF2
.long 0xD3B14036, 0x18026D1E
.long 0xD3B24004, 0x18026110
.long 0xD3B24006, 0x18026512
.long 0xD3B24008, 0x18026914
.long 0xD3B2400A, 0x18026D16
.long 0xBEC41E3A
.long 0x7E600304
.long 0x7E620305
.long 0x7E640306
.long 0x7E660307
.long 0x7E680308
.long 0x7E6A0309
.long 0x7E6C030A
.long 0x7E6E030B
.long 0xE07C1000, 0x80033028
.long 0xE07C1010, 0x80033428
	;; [unrolled: 31-line block ×4, first 2 shown]
.long 0xBF800000
.long 0x7E8202FF, 0x80000000
.long 0xD1196A01, 0x00013B01
.long 0x92469D22
.long 0xD1340002, 0x00008D02
.long 0x92469D20
.long 0xD1340003, 0x00008D03
.long 0xD0C90046, 0x00002900
	;; [unrolled: 1-line block ×3, first 2 shown]
.long 0x86CA4A46
.long 0x924602FF, 0x00000100
.long 0xD135000E, 0x00008D00
.long 0x241C1C82
.long 0xD100000E, 0x012A1D41
.long 0xD9FE0000, 0x1000000E
	;; [unrolled: 1-line block ×3, first 2 shown]
.long 0x241E0082
.long 0xE05C1000, 0x800F180F
.long 0xE05C1010, 0x800F1C0F
	;; [unrolled: 1-line block ×9, first 2 shown]
.long 0x86CA4A46
.long 0x924602FF, 0x00000100
.long 0xD1350029, 0x00008D00
.long 0x24525282
.long 0xD1000029, 0x012A5341
.long 0x24540082
.long 0xD1FE0028, 0x020A0103
.long 0xD1000028, 0x012A5141
	;; [unrolled: 1-line block ×7, first 2 shown]
.long 0x86CA4A46
.long 0x924602FF, 0x00000100
.long 0xD135002C, 0x00008D00
.long 0x24585882
.long 0xD100002C, 0x012A5941
.long 0x245A0082
.long 0xD1FE002B, 0x020A0103
.long 0xD100002B, 0x012A5741
	;; [unrolled: 1-line block ×7, first 2 shown]
.long 0x86CA4A46
.long 0x924602FF, 0x00000100
.long 0xD135002F, 0x00008D00
.long 0x245E5E82
.long 0xD100002F, 0x012A5F41
.long 0x24800082
.long 0xD1FE002E, 0x020A0103
.long 0xD100002E, 0x012A5D41
.long 0x7E400380
.long 0x7E420384
	;; [unrolled: 1-line block ×66, first 2 shown]
.long 0xD0CC0030, 0x0001003E
.long 0xD1000018, 0x00C230F2
.long 0xD1000019, 0x00C232F2
.long 0xD3B14020, 0x18024118
.long 0xD0CC0030, 0x0001003E
.long 0xD100001A, 0x00C234F2
.long 0xD100001B, 0x00C236F2
.long 0xD3B14022, 0x1802451A
.long 0xD0CC0030, 0x0001003E
.long 0xD100001C, 0x00C238F2
.long 0xD100001D, 0x00C23AF2
.long 0xD3B14024, 0x1802491C
.long 0xD0CC0030, 0x0001003E
.long 0xD100001E, 0x00C23CF2
.long 0xD100001F, 0x00C23EF2
.long 0xD3B14026, 0x18024D1E
.long 0xD3B24004, 0x18024110
.long 0xD3B24006, 0x18024512
.long 0xD3B24008, 0x18024914
.long 0xD3B2400A, 0x18024D16
.long 0xBEC41E3A
.long 0x7E400304
.long 0x7E420305
.long 0x7E440306
.long 0x7E460307
.long 0x7E480308
.long 0x7E4A0309
.long 0x7E4C030A
.long 0x7E4E030B
.long 0xE07C1000, 0x8003200D
.long 0xE07C1010, 0x8003240D
.long 0xD0CC0030, 0x0001003E
.long 0xD1000018, 0x00C230F2
.long 0xD1000019, 0x00C232F2
.long 0xD3B14030, 0x18026118
.long 0xD0CC0030, 0x0001003E
.long 0xD100001A, 0x00C234F2
.long 0xD100001B, 0x00C236F2
.long 0xD3B14032, 0x1802651A
.long 0xD0CC0030, 0x0001003E
.long 0xD100001C, 0x00C238F2
.long 0xD100001D, 0x00C23AF2
.long 0xD3B14034, 0x1802691C
.long 0xD0CC0030, 0x0001003E
.long 0xD100001E, 0x00C23CF2
.long 0xD100001F, 0x00C23EF2
.long 0xD3B14036, 0x18026D1E
.long 0xD3B24004, 0x18026110
.long 0xD3B24006, 0x18026512
.long 0xD3B24008, 0x18026914
.long 0xD3B2400A, 0x18026D16
.long 0xBEC41E3A
.long 0x7E600304
.long 0x7E620305
.long 0x7E640306
.long 0x7E660307
.long 0x7E680308
.long 0x7E6A0309
.long 0x7E6C030A
.long 0x7E6E030B
.long 0xE07C1000, 0x80033028
.long 0xE07C1010, 0x80033428
	;; [unrolled: 31-line block ×4, first 2 shown]
.long 0xBF800000
.long 0x7E8202FF, 0x80000000
.long 0xD1196A01, 0x00013B01
.long 0x92469D22
.long 0xD1340002, 0x00008D02
.long 0x92469D20
.long 0xD1340003, 0x00008D03
.long 0xD0C90046, 0x00002900
	;; [unrolled: 1-line block ×3, first 2 shown]
.long 0x86CA4A46
.long 0x924602FF, 0x00000100
.long 0xD135000E, 0x00008D00
.long 0x241C1C82
.long 0xD100000E, 0x012A1D41
.long 0xD9FE0000, 0x1000000E
.long 0xD9FE0010, 0x1400000E
.long 0x241E0082
.long 0xE05C1000, 0x800F180F
.long 0xE05C1010, 0x800F1C0F
	;; [unrolled: 1-line block ×9, first 2 shown]
.long 0x86CA4A46
.long 0x924602FF, 0x00000100
.long 0xD1350029, 0x00008D00
.long 0x24525282
.long 0xD1000029, 0x012A5341
.long 0x24540082
.long 0xD1FE0028, 0x020A0103
.long 0xD1000028, 0x012A5141
	;; [unrolled: 1-line block ×7, first 2 shown]
.long 0x86CA4A46
.long 0x924602FF, 0x00000100
.long 0xD135002C, 0x00008D00
.long 0x24585882
.long 0xD100002C, 0x012A5941
.long 0x245A0082
.long 0xD1FE002B, 0x020A0103
.long 0xD100002B, 0x012A5741
	;; [unrolled: 1-line block ×7, first 2 shown]
.long 0x86CA4A46
.long 0x924602FF, 0x00000100
.long 0xD135002F, 0x00008D00
.long 0x245E5E82
.long 0xD100002F, 0x012A5F41
.long 0x24800082
.long 0xD1FE002E, 0x020A0103
.long 0xD100002E, 0x012A5D41
.long 0x7E4003A0
.long 0x7E4203A4
	;; [unrolled: 1-line block ×66, first 2 shown]
.long 0xD0CC0030, 0x0001003E
.long 0xD1000018, 0x00C230F2
.long 0xD1000019, 0x00C232F2
.long 0xD3B14020, 0x18024118
.long 0xD0CC0030, 0x0001003E
.long 0xD100001A, 0x00C234F2
.long 0xD100001B, 0x00C236F2
.long 0xD3B14022, 0x1802451A
.long 0xD0CC0030, 0x0001003E
.long 0xD100001C, 0x00C238F2
.long 0xD100001D, 0x00C23AF2
.long 0xD3B14024, 0x1802491C
.long 0xD0CC0030, 0x0001003E
.long 0xD100001E, 0x00C23CF2
.long 0xD100001F, 0x00C23EF2
.long 0xD3B14026, 0x18024D1E
.long 0xD3B24004, 0x18024110
.long 0xD3B24006, 0x18024512
.long 0xD3B24008, 0x18024914
.long 0xD3B2400A, 0x18024D16
.long 0xBEC41E3A
.long 0x7E400304
.long 0x7E420305
.long 0x7E440306
.long 0x7E460307
.long 0x7E480308
.long 0x7E4A0309
.long 0x7E4C030A
.long 0x7E4E030B
.long 0xE07C1000, 0x8003200D
.long 0xE07C1010, 0x8003240D
.long 0xD0CC0030, 0x0001003E
.long 0xD1000018, 0x00C230F2
.long 0xD1000019, 0x00C232F2
.long 0xD3B14030, 0x18026118
.long 0xD0CC0030, 0x0001003E
.long 0xD100001A, 0x00C234F2
.long 0xD100001B, 0x00C236F2
.long 0xD3B14032, 0x1802651A
.long 0xD0CC0030, 0x0001003E
.long 0xD100001C, 0x00C238F2
.long 0xD100001D, 0x00C23AF2
.long 0xD3B14034, 0x1802691C
.long 0xD0CC0030, 0x0001003E
.long 0xD100001E, 0x00C23CF2
.long 0xD100001F, 0x00C23EF2
.long 0xD3B14036, 0x18026D1E
.long 0xD3B24004, 0x18026110
.long 0xD3B24006, 0x18026512
.long 0xD3B24008, 0x18026914
.long 0xD3B2400A, 0x18026D16
.long 0xBEC41E3A
.long 0x7E600304
.long 0x7E620305
.long 0x7E640306
.long 0x7E660307
.long 0x7E680308
.long 0x7E6A0309
.long 0x7E6C030A
.long 0x7E6E030B
.long 0xE07C1000, 0x80033028
.long 0xE07C1010, 0x80033428
.long 0xD0CC0030, 0x0001003E
.long 0xD1000018, 0x00C230F2
.long 0xD1000019, 0x00C232F2
.long 0xD3B14038, 0x18027118
.long 0xD0CC0030, 0x0001003E
.long 0xD100001A, 0x00C234F2
.long 0xD100001B, 0x00C236F2
.long 0xD3B1403A, 0x1802751A
.long 0xD0CC0030, 0x0001003E
.long 0xD100001C, 0x00C238F2
.long 0xD100001D, 0x00C23AF2
.long 0xD3B1403C, 0x1802791C
.long 0xD0CC0030, 0x0001003E
.long 0xD100001E, 0x00C23CF2
.long 0xD100001F, 0x00C23EF2
.long 0xD3B1403E, 0x18027D1E
.long 0xD3B24004, 0x18027110
.long 0xD3B24006, 0x18027512
.long 0xD3B24008, 0x18027914
.long 0xD3B2400A, 0x18027D16
.long 0xBEC41E3A
.long 0x7E700304
.long 0x7E720305
.long 0x7E740306
.long 0x7E760307
.long 0x7E780308
.long 0x7E7A0309
.long 0x7E7C030A
.long 0x7E7E030B
.long 0xE07C1000, 0x8003382B
.long 0xE07C1010, 0x80033C2B
.long 0xD0CC0030, 0x0001003E
.long 0xD1000018, 0x00C230F2
.long 0xD1000019, 0x00C232F2
.long 0xD3B14048, 0x18029118
.long 0xD0CC0030, 0x0001003E
.long 0xD100001A, 0x00C234F2
.long 0xD100001B, 0x00C236F2
.long 0xD3B1404A, 0x1802951A
.long 0xD0CC0030, 0x0001003E
.long 0xD100001C, 0x00C238F2
.long 0xD100001D, 0x00C23AF2
.long 0xD3B1404C, 0x1802991C
.long 0xD0CC0030, 0x0001003E
.long 0xD100001E, 0x00C23CF2
.long 0xD100001F, 0x00C23EF2
.long 0xD3B1404E, 0x18029D1E
.long 0xD3B24004, 0x18029110
.long 0xD3B24006, 0x18029512
.long 0xD3B24008, 0x18029914
.long 0xD3B2400A, 0x18029D16
.long 0xBEC41E3A
.long 0x7E900304
.long 0x7E920305
.long 0x7E940306
.long 0x7E960307
.long 0x7E980308
.long 0x7E9A0309
.long 0x7E9C030A
.long 0x7E9E030B
.long 0xE07C1000, 0x8003482E
.long 0xE07C1010, 0x80034C2E
.long 0xBF800000
.long 0x7E8202FF, 0x80000000
.long 0xD1196A01, 0x00013B01
.long 0x92469D22
.long 0xD1340002, 0x00008D02
.long 0x92469D20
.long 0xD1340003, 0x00008D03
.long 0xD0C90046, 0x00002900
	;; [unrolled: 1-line block ×3, first 2 shown]
.long 0x86CA4A46
.long 0x924602FF, 0x00000100
.long 0xD135000E, 0x00008D00
.long 0x241C1C82
.long 0xD100000E, 0x012A1D41
.long 0xD9FE0000, 0x1000000E
	;; [unrolled: 1-line block ×3, first 2 shown]
.long 0x241E0082
.long 0xE05C1000, 0x800F180F
.long 0xE05C1010, 0x800F1C0F
	;; [unrolled: 1-line block ×9, first 2 shown]
.long 0x86CA4A46
.long 0x924602FF, 0x00000100
.long 0xD1350029, 0x00008D00
.long 0x24525282
.long 0xD1000029, 0x012A5341
.long 0x24540082
.long 0xD1FE0028, 0x020A0103
.long 0xD1000028, 0x012A5141
	;; [unrolled: 1-line block ×7, first 2 shown]
.long 0x86CA4A46
.long 0x924602FF, 0x00000100
.long 0xD135002C, 0x00008D00
.long 0x24585882
.long 0xD100002C, 0x012A5941
.long 0x245A0082
.long 0xD1FE002B, 0x020A0103
.long 0xD100002B, 0x012A5741
	;; [unrolled: 1-line block ×7, first 2 shown]
.long 0x86CA4A46
.long 0x924602FF, 0x00000100
.long 0xD135002F, 0x00008D00
.long 0x245E5E82
.long 0xD100002F, 0x012A5F41
.long 0x24800082
.long 0xD1FE002E, 0x020A0103
.long 0xD100002E, 0x012A5D41
.long 0x7E4003C0
.long 0x7E4203C4
	;; [unrolled: 1-line block ×66, first 2 shown]
.long 0xD0CC0030, 0x0001003E
.long 0xD1000018, 0x00C230F2
.long 0xD1000019, 0x00C232F2
.long 0xD3B14020, 0x18024118
.long 0xD0CC0030, 0x0001003E
.long 0xD100001A, 0x00C234F2
.long 0xD100001B, 0x00C236F2
.long 0xD3B14022, 0x1802451A
.long 0xD0CC0030, 0x0001003E
.long 0xD100001C, 0x00C238F2
.long 0xD100001D, 0x00C23AF2
.long 0xD3B14024, 0x1802491C
.long 0xD0CC0030, 0x0001003E
.long 0xD100001E, 0x00C23CF2
.long 0xD100001F, 0x00C23EF2
.long 0xD3B14026, 0x18024D1E
.long 0xD3B24004, 0x18024110
.long 0xD3B24006, 0x18024512
.long 0xD3B24008, 0x18024914
.long 0xD3B2400A, 0x18024D16
.long 0xBEC41E3A
.long 0x7E400304
.long 0x7E420305
.long 0x7E440306
.long 0x7E460307
.long 0x7E480308
.long 0x7E4A0309
.long 0x7E4C030A
.long 0x7E4E030B
.long 0xE07C1000, 0x8003200D
.long 0xE07C1010, 0x8003240D
.long 0xD0CC0030, 0x0001003E
.long 0xD1000018, 0x00C230F2
.long 0xD1000019, 0x00C232F2
.long 0xD3B14030, 0x18026118
.long 0xD0CC0030, 0x0001003E
.long 0xD100001A, 0x00C234F2
.long 0xD100001B, 0x00C236F2
.long 0xD3B14032, 0x1802651A
.long 0xD0CC0030, 0x0001003E
.long 0xD100001C, 0x00C238F2
.long 0xD100001D, 0x00C23AF2
.long 0xD3B14034, 0x1802691C
.long 0xD0CC0030, 0x0001003E
.long 0xD100001E, 0x00C23CF2
.long 0xD100001F, 0x00C23EF2
.long 0xD3B14036, 0x18026D1E
.long 0xD3B24004, 0x18026110
.long 0xD3B24006, 0x18026512
.long 0xD3B24008, 0x18026914
.long 0xD3B2400A, 0x18026D16
.long 0xBEC41E3A
.long 0x7E600304
.long 0x7E620305
.long 0x7E640306
.long 0x7E660307
.long 0x7E680308
.long 0x7E6A0309
.long 0x7E6C030A
.long 0x7E6E030B
.long 0xE07C1000, 0x80033028
.long 0xE07C1010, 0x80033428
	;; [unrolled: 31-line block ×4, first 2 shown]
.long 0xBF800000
.long 0x7E8202FF, 0x80000000
.long 0xD1196A01, 0x00013B01
.long 0x92469D22
.long 0xD1340002, 0x00008D02
.long 0x92469D20
.long 0xD1340003, 0x00008D03
.long 0xD0C90046, 0x00002900
	;; [unrolled: 1-line block ×3, first 2 shown]
.long 0x86CA4A46
.long 0x924602FF, 0x00000100
.long 0xD135000E, 0x00008D00
.long 0x241C1C82
.long 0xD100000E, 0x012A1D41
.long 0xD9FE0000, 0x1000000E
.long 0xD9FE0010, 0x1400000E
.long 0x241E0082
.long 0xE05C1000, 0x800F180F
.long 0xE05C1010, 0x800F1C0F
	;; [unrolled: 1-line block ×9, first 2 shown]
.long 0x86CA4A46
.long 0x924602FF, 0x00000100
.long 0xD1350029, 0x00008D00
.long 0x24525282
.long 0xD1000029, 0x012A5341
.long 0x24540082
.long 0xD1FE0028, 0x020A0103
.long 0xD1000028, 0x012A5141
	;; [unrolled: 1-line block ×7, first 2 shown]
.long 0x86CA4A46
.long 0x924602FF, 0x00000100
.long 0xD135002C, 0x00008D00
.long 0x24585882
.long 0xD100002C, 0x012A5941
.long 0x245A0082
.long 0xD1FE002B, 0x020A0103
.long 0xD100002B, 0x012A5741
	;; [unrolled: 1-line block ×7, first 2 shown]
.long 0x86CA4A46
.long 0x924602FF, 0x00000100
.long 0xD135002F, 0x00008D00
.long 0x245E5E82
.long 0xD100002F, 0x012A5F41
.long 0x24800082
.long 0xD1FE002E, 0x020A0103
.long 0xD100002E, 0x012A5D41
.long 0x7E4003E0
.long 0x7E4203E4
	;; [unrolled: 1-line block ×66, first 2 shown]
.long 0xD0CC0030, 0x0001003E
.long 0xD1000018, 0x00C230F2
.long 0xD1000019, 0x00C232F2
.long 0xD3B14020, 0x18024118
.long 0xD0CC0030, 0x0001003E
.long 0xD100001A, 0x00C234F2
.long 0xD100001B, 0x00C236F2
.long 0xD3B14022, 0x1802451A
.long 0xD0CC0030, 0x0001003E
.long 0xD100001C, 0x00C238F2
.long 0xD100001D, 0x00C23AF2
.long 0xD3B14024, 0x1802491C
.long 0xD0CC0030, 0x0001003E
.long 0xD100001E, 0x00C23CF2
.long 0xD100001F, 0x00C23EF2
.long 0xD3B14026, 0x18024D1E
.long 0xD3B24004, 0x18024110
.long 0xD3B24006, 0x18024512
.long 0xD3B24008, 0x18024914
.long 0xD3B2400A, 0x18024D16
.long 0xBEC41E3A
.long 0x7E400304
.long 0x7E420305
.long 0x7E440306
.long 0x7E460307
.long 0x7E480308
.long 0x7E4A0309
.long 0x7E4C030A
.long 0x7E4E030B
.long 0xE07C1000, 0x8003200D
.long 0xE07C1010, 0x8003240D
.long 0xD0CC0030, 0x0001003E
.long 0xD1000018, 0x00C230F2
.long 0xD1000019, 0x00C232F2
.long 0xD3B14030, 0x18026118
.long 0xD0CC0030, 0x0001003E
.long 0xD100001A, 0x00C234F2
.long 0xD100001B, 0x00C236F2
.long 0xD3B14032, 0x1802651A
.long 0xD0CC0030, 0x0001003E
.long 0xD100001C, 0x00C238F2
.long 0xD100001D, 0x00C23AF2
.long 0xD3B14034, 0x1802691C
.long 0xD0CC0030, 0x0001003E
.long 0xD100001E, 0x00C23CF2
.long 0xD100001F, 0x00C23EF2
.long 0xD3B14036, 0x18026D1E
.long 0xD3B24004, 0x18026110
.long 0xD3B24006, 0x18026512
.long 0xD3B24008, 0x18026914
.long 0xD3B2400A, 0x18026D16
.long 0xBEC41E3A
.long 0x7E600304
.long 0x7E620305
.long 0x7E640306
.long 0x7E660307
.long 0x7E680308
.long 0x7E6A0309
.long 0x7E6C030A
.long 0x7E6E030B
.long 0xE07C1000, 0x80033028
.long 0xE07C1010, 0x80033428
	;; [unrolled: 31-line block ×4, first 2 shown]
.long 0xBF800000
.long 0xBF822EA5
.long 0x864614FF, 0x000000FF
.long 0x804709C1
.long 0xBF094702
	;; [unrolled: 1-line block ×6, first 2 shown]
.long 0x924815FF, 0x00000155
.long 0x8EC89048
.long 0x9247FF15, 0x00005556
.long 0x80484847
.long 0x82498049
	;; [unrolled: 1-line block ×4, first 2 shown]
.long 0x9248FF47, 0x00000180
.long 0x80C64815
.long 0x80470AC1
.long 0xBF094703
.long 0x85468046
.long 0xB5460000
.long 0xBF851480
.long 0xD1FE000E, 0x020A0102
.long 0xE05C1000, 0x8004180E
	;; [unrolled: 1-line block ×5, first 2 shown]
.long 0x241E1E82
.long 0xBF8CC07F
	;; [unrolled: 1-line block ×3, first 2 shown]
.long 0xD9FE0000, 0x2000000F
.long 0xD9FE0010, 0x2400000F
.long 0x24200082
.long 0xE05C1000, 0x800F2810
.long 0xE05C1010, 0x800F2C10
.long 0x8E468222
.long 0x80104610
	;; [unrolled: 1-line block ×3, first 2 shown]
.long 0xE05C1000, 0x8004380E
.long 0xE05C1010, 0x80043C0E
	;; [unrolled: 1-line block ×19, first 2 shown]
.long 0xBF800001
.long 0x0A606028
	;; [unrolled: 1-line block ×18, first 2 shown]
.long 0xD0CC0030, 0x0001003E
.long 0xD1000028, 0x00C250F2
	;; [unrolled: 1-line block ×28, first 2 shown]
.long 0xBEC41E3A
.long 0x7E600304
	;; [unrolled: 1-line block ×9, first 2 shown]
.long 0xE07C1000, 0x8003300D
.long 0xE07C1010, 0x8003340D
.long 0xBF8C0F71
.long 0xD0CC0030, 0x0001003E
.long 0xD1000028, 0x00C250F2
	;; [unrolled: 1-line block ×28, first 2 shown]
.long 0xBEC41E3A
.long 0x7E800304
	;; [unrolled: 1-line block ×12, first 2 shown]
.long 0xE07C1000, 0x8003400D
.long 0xE07C1010, 0x8003440D
.long 0xBF800000
.long 0x8E468222
	;; [unrolled: 1-line block ×4, first 2 shown]
.long 0xE05C1000, 0x8004180E
.long 0xE05C1010, 0x80041C0E
	;; [unrolled: 1-line block ×4, first 2 shown]
.long 0x241E1E82
.long 0xD9FE0000, 0x2000000F
.long 0xD9FE0010, 0x2400000F
	;; [unrolled: 1-line block ×4, first 2 shown]
.long 0x8E468222
.long 0x80104610
	;; [unrolled: 1-line block ×3, first 2 shown]
.long 0xE05C1000, 0x8004380E
.long 0xE05C1010, 0x80043C0E
	;; [unrolled: 1-line block ×18, first 2 shown]
.long 0xBF800001
.long 0x0A606028
	;; [unrolled: 1-line block ×18, first 2 shown]
.long 0xD0CC0030, 0x0001003E
.long 0xD1000028, 0x00C250F2
	;; [unrolled: 1-line block ×28, first 2 shown]
.long 0xBEC41E3A
.long 0x7E600304
.long 0x7E620305
.long 0x7E640306
.long 0x7E660307
.long 0x7E680308
.long 0x7E6A0309
.long 0x7E6C030A
.long 0x7E6E030B
.long 0x8E468220
.long 0x800C460C
.long 0x820D800D
.long 0xE07C1000, 0x8003300D
.long 0xE07C1010, 0x8003340D
.long 0xBF8C0F71
.long 0xD0CC0030, 0x0001003E
.long 0xD1000028, 0x00C250F2
	;; [unrolled: 1-line block ×28, first 2 shown]
.long 0xBEC41E3A
.long 0x7E800304
.long 0x7E820305
.long 0x7E840306
.long 0x7E860307
.long 0x7E880308
.long 0x7E8A0309
.long 0x7E8C030A
.long 0x7E8E030B
.long 0x8E468220
.long 0x800C460C
.long 0x820D800D
.long 0xE07C1000, 0x8003400D
.long 0xE07C1010, 0x8003440D
.long 0xBF800000
.long 0x9246FF22, 0x00000074
.long 0x80104610
.long 0x82118011
.long 0xE05C1000, 0x8004180E
.long 0xE05C1010, 0x80041C0E
	;; [unrolled: 1-line block ×4, first 2 shown]
.long 0x241E1E82
.long 0xD9FE0000, 0x2000000F
.long 0xD9FE0010, 0x2400000F
	;; [unrolled: 1-line block ×4, first 2 shown]
.long 0x8E468222
.long 0x80104610
	;; [unrolled: 1-line block ×3, first 2 shown]
.long 0xE05C1000, 0x8004380E
.long 0xE05C1010, 0x80043C0E
	;; [unrolled: 1-line block ×18, first 2 shown]
.long 0xBF800001
.long 0x0A606028
	;; [unrolled: 1-line block ×18, first 2 shown]
.long 0xD0CC0030, 0x0001003E
.long 0xD1000028, 0x00C250F2
	;; [unrolled: 1-line block ×28, first 2 shown]
.long 0xBEC41E3A
.long 0x7E600304
	;; [unrolled: 1-line block ×9, first 2 shown]
.long 0x9246FF20, 0x00000074
.long 0x800C460C
.long 0x820D800D
.long 0xE07C1000, 0x8003300D
.long 0xE07C1010, 0x8003340D
.long 0xBF8C0F71
.long 0xD0CC0030, 0x0001003E
.long 0xD1000028, 0x00C250F2
	;; [unrolled: 1-line block ×28, first 2 shown]
.long 0xBEC41E3A
.long 0x7E800304
	;; [unrolled: 1-line block ×12, first 2 shown]
.long 0xE07C1000, 0x8003400D
.long 0xE07C1010, 0x8003440D
.long 0xBF800000
.long 0x8E468222
.long 0x80104610
.long 0x82118011
.long 0xE05C1000, 0x8004180E
.long 0xE05C1010, 0x80041C0E
	;; [unrolled: 1-line block ×4, first 2 shown]
.long 0x241E1E82
.long 0xD9FE0000, 0x2000000F
.long 0xD9FE0010, 0x2400000F
	;; [unrolled: 1-line block ×4, first 2 shown]
.long 0x8E468222
.long 0x80104610
	;; [unrolled: 1-line block ×3, first 2 shown]
.long 0xE05C1000, 0x8004380E
.long 0xE05C1010, 0x80043C0E
	;; [unrolled: 1-line block ×18, first 2 shown]
.long 0xBF800001
.long 0x0A606028
	;; [unrolled: 1-line block ×18, first 2 shown]
.long 0xD0CC0030, 0x0001003E
.long 0xD1000028, 0x00C250F2
	;; [unrolled: 1-line block ×28, first 2 shown]
.long 0xBEC41E3A
.long 0x7E600304
	;; [unrolled: 1-line block ×12, first 2 shown]
.long 0xE07C1000, 0x8003300D
.long 0xE07C1010, 0x8003340D
.long 0xBF8C0F71
.long 0xD0CC0030, 0x0001003E
.long 0xD1000028, 0x00C250F2
.long 0xD1000029, 0x00C252F2
.long 0xD3B14040, 0x18028128
.long 0xD0CC0030, 0x0001003E
.long 0xD100002A, 0x00C254F2
.long 0xD100002B, 0x00C256F2
.long 0xD3B14042, 0x1802852A
.long 0xD0CC0030, 0x0001003E
.long 0xD100002C, 0x00C258F2
.long 0xD100002D, 0x00C25AF2
.long 0xD3B14044, 0x1802892C
.long 0xD0CC0030, 0x0001003E
.long 0xD100002E, 0x00C25CF2
.long 0xD100002F, 0x00C25EF2
.long 0xD3B14046, 0x18028D2E
.long 0xD13B0040, 0x00005338
.long 0xD13B0041, 0x00005339
.long 0xD13B0042, 0x0000533A
.long 0xD13B0043, 0x0000533B
.long 0xD13B0044, 0x0000533C
.long 0xD13B0045, 0x0000533D
.long 0xD13B0046, 0x0000533E
.long 0xD13B0047, 0x0000533F
.long 0xD3B24004, 0x18028120
.long 0xD3B24006, 0x18028522
.long 0xD3B24008, 0x18028924
.long 0xD3B2400A, 0x18028D26
.long 0xBEC41E3A
.long 0x7E800304
	;; [unrolled: 1-line block ×12, first 2 shown]
.long 0xE07C1000, 0x8003400D
.long 0xE07C1010, 0x8003440D
.long 0xBF800000
.long 0x9246FF22, 0x00000074
.long 0x80104610
.long 0x82118011
.long 0xE05C1000, 0x8004180E
.long 0xE05C1010, 0x80041C0E
	;; [unrolled: 1-line block ×4, first 2 shown]
.long 0x241E1E82
.long 0xD9FE0000, 0x2000000F
.long 0xD9FE0010, 0x2400000F
	;; [unrolled: 1-line block ×4, first 2 shown]
.long 0x8E468222
.long 0x80104610
	;; [unrolled: 1-line block ×3, first 2 shown]
.long 0xE05C1000, 0x8004380E
.long 0xE05C1010, 0x80043C0E
	;; [unrolled: 1-line block ×18, first 2 shown]
.long 0xBF800001
.long 0x0A606028
	;; [unrolled: 1-line block ×18, first 2 shown]
.long 0xD0CC0030, 0x0001003E
.long 0xD1000028, 0x00C250F2
	;; [unrolled: 1-line block ×28, first 2 shown]
.long 0xBEC41E3A
.long 0x7E600304
	;; [unrolled: 1-line block ×9, first 2 shown]
.long 0x9246FF20, 0x00000074
.long 0x800C460C
.long 0x820D800D
.long 0xE07C1000, 0x8003300D
.long 0xE07C1010, 0x8003340D
.long 0xBF8C0F71
.long 0xD0CC0030, 0x0001003E
.long 0xD1000028, 0x00C250F2
	;; [unrolled: 1-line block ×28, first 2 shown]
.long 0xBEC41E3A
.long 0x7E800304
	;; [unrolled: 1-line block ×12, first 2 shown]
.long 0xE07C1000, 0x8003400D
.long 0xE07C1010, 0x8003440D
.long 0xBF800000
.long 0x8E468222
	;; [unrolled: 1-line block ×4, first 2 shown]
.long 0xE05C1000, 0x8004180E
.long 0xE05C1010, 0x80041C0E
	;; [unrolled: 1-line block ×4, first 2 shown]
.long 0x241E1E82
.long 0xD9FE0000, 0x2000000F
.long 0xD9FE0010, 0x2400000F
	;; [unrolled: 1-line block ×4, first 2 shown]
.long 0x8E468222
.long 0x80104610
	;; [unrolled: 1-line block ×3, first 2 shown]
.long 0xE05C1000, 0x8004380E
.long 0xE05C1010, 0x80043C0E
.long 0xD3D84030, 0x18000142
.long 0xD3D84031, 0x18000146
.long 0xD3D84032, 0x1800014A
.long 0xD3D84033, 0x1800014E
.long 0xD3D84034, 0x18000152
.long 0xD3D84035, 0x18000156
.long 0xD3D84036, 0x1800015A
.long 0xD3D84037, 0x1800015E
.long 0xD3D84040, 0x18000143
.long 0xD3D84041, 0x18000147
.long 0xD3D84042, 0x1800014B
.long 0xD3D84043, 0x1800014F
.long 0xD3D84044, 0x18000153
.long 0xD3D84045, 0x18000157
.long 0xD3D84046, 0x1800015B
.long 0xD3D84047, 0x1800015F
.long 0xBF800001
.long 0x0A606028
	;; [unrolled: 1-line block ×18, first 2 shown]
.long 0xD0CC0030, 0x0001003E
.long 0xD1000028, 0x00C250F2
	;; [unrolled: 1-line block ×28, first 2 shown]
.long 0xBEC41E3A
.long 0x7E600304
	;; [unrolled: 1-line block ×12, first 2 shown]
.long 0xE07C1000, 0x8003300D
.long 0xE07C1010, 0x8003340D
.long 0xBF8C0F71
.long 0xD0CC0030, 0x0001003E
.long 0xD1000028, 0x00C250F2
	;; [unrolled: 1-line block ×28, first 2 shown]
.long 0xBEC41E3A
.long 0x7E800304
	;; [unrolled: 1-line block ×12, first 2 shown]
.long 0xE07C1000, 0x8003400D
.long 0xE07C1010, 0x8003440D
.long 0xBF800000
.long 0x9246FF22, 0x00000074
.long 0x80104610
.long 0x82118011
.long 0xE05C1000, 0x8004180E
.long 0xE05C1010, 0x80041C0E
.long 0x924602FF, 0x00000100
.long 0xD135000F, 0x00008D00
.long 0x241E1E82
.long 0xD9FE0000, 0x2000000F
.long 0xD9FE0010, 0x2400000F
	;; [unrolled: 1-line block ×4, first 2 shown]
.long 0x8E468222
.long 0x80104610
	;; [unrolled: 1-line block ×3, first 2 shown]
.long 0xE05C1000, 0x8004380E
.long 0xE05C1010, 0x80043C0E
	;; [unrolled: 1-line block ×18, first 2 shown]
.long 0xBF800001
.long 0x0A606028
	;; [unrolled: 1-line block ×18, first 2 shown]
.long 0xD0CC0030, 0x0001003E
.long 0xD1000028, 0x00C250F2
	;; [unrolled: 1-line block ×28, first 2 shown]
.long 0xBEC41E3A
.long 0x7E600304
	;; [unrolled: 1-line block ×9, first 2 shown]
.long 0x9246FF20, 0x00000074
.long 0x800C460C
.long 0x820D800D
.long 0xE07C1000, 0x8003300D
.long 0xE07C1010, 0x8003340D
.long 0xBF8C0F71
.long 0xD0CC0030, 0x0001003E
.long 0xD1000028, 0x00C250F2
	;; [unrolled: 1-line block ×28, first 2 shown]
.long 0xBEC41E3A
.long 0x7E800304
	;; [unrolled: 1-line block ×12, first 2 shown]
.long 0xE07C1000, 0x8003400D
.long 0xE07C1010, 0x8003440D
.long 0xBF800000
.long 0x8E468222
.long 0x80104610
.long 0x82118011
.long 0xE05C1000, 0x8004180E
.long 0xE05C1010, 0x80041C0E
	;; [unrolled: 1-line block ×4, first 2 shown]
.long 0x241E1E82
.long 0xD9FE0000, 0x2000000F
.long 0xD9FE0010, 0x2400000F
	;; [unrolled: 1-line block ×4, first 2 shown]
.long 0x8E468222
.long 0x80104610
	;; [unrolled: 1-line block ×3, first 2 shown]
.long 0xE05C1000, 0x8004380E
.long 0xE05C1010, 0x80043C0E
	;; [unrolled: 1-line block ×18, first 2 shown]
.long 0xBF800001
.long 0x0A606028
	;; [unrolled: 1-line block ×18, first 2 shown]
.long 0xD0CC0030, 0x0001003E
.long 0xD1000028, 0x00C250F2
	;; [unrolled: 1-line block ×28, first 2 shown]
.long 0xBEC41E3A
.long 0x7E600304
	;; [unrolled: 1-line block ×12, first 2 shown]
.long 0xE07C1000, 0x8003300D
.long 0xE07C1010, 0x8003340D
.long 0xBF8C0F71
.long 0xD0CC0030, 0x0001003E
.long 0xD1000028, 0x00C250F2
	;; [unrolled: 1-line block ×28, first 2 shown]
.long 0xBEC41E3A
.long 0x7E800304
	;; [unrolled: 1-line block ×12, first 2 shown]
.long 0xE07C1000, 0x8003400D
.long 0xE07C1010, 0x8003440D
.long 0xBF800000
.long 0x9246FF22, 0x00000074
.long 0x80104610
.long 0x82118011
.long 0xE05C1000, 0x8004180E
.long 0xE05C1010, 0x80041C0E
	;; [unrolled: 1-line block ×4, first 2 shown]
.long 0x241E1E82
.long 0xD9FE0000, 0x2000000F
.long 0xD9FE0010, 0x2400000F
	;; [unrolled: 1-line block ×4, first 2 shown]
.long 0x8E468222
.long 0x80104610
	;; [unrolled: 1-line block ×3, first 2 shown]
.long 0xE05C1000, 0x8004380E
.long 0xE05C1010, 0x80043C0E
	;; [unrolled: 1-line block ×18, first 2 shown]
.long 0xBF800001
.long 0x0A606028
	;; [unrolled: 1-line block ×18, first 2 shown]
.long 0xD0CC0030, 0x0001003E
.long 0xD1000028, 0x00C250F2
	;; [unrolled: 1-line block ×28, first 2 shown]
.long 0xBEC41E3A
.long 0x7E600304
.long 0x7E620305
.long 0x7E640306
.long 0x7E660307
.long 0x7E680308
.long 0x7E6A0309
.long 0x7E6C030A
.long 0x7E6E030B
.long 0x9246FF20, 0x00000074
.long 0x800C460C
.long 0x820D800D
.long 0xE07C1000, 0x8003300D
.long 0xE07C1010, 0x8003340D
.long 0xBF8C0F71
.long 0xD0CC0030, 0x0001003E
.long 0xD1000028, 0x00C250F2
	;; [unrolled: 1-line block ×28, first 2 shown]
.long 0xBEC41E3A
.long 0x7E800304
	;; [unrolled: 1-line block ×12, first 2 shown]
.long 0xE07C1000, 0x8003400D
.long 0xE07C1010, 0x8003440D
.long 0xBF800000
.long 0x8E468222
	;; [unrolled: 1-line block ×4, first 2 shown]
.long 0xE05C1000, 0x8004180E
.long 0xE05C1010, 0x80041C0E
	;; [unrolled: 1-line block ×4, first 2 shown]
.long 0x241E1E82
.long 0xD9FE0000, 0x2000000F
.long 0xD9FE0010, 0x2400000F
	;; [unrolled: 1-line block ×4, first 2 shown]
.long 0x8E468222
.long 0x80104610
	;; [unrolled: 1-line block ×3, first 2 shown]
.long 0xE05C1000, 0x8004380E
.long 0xE05C1010, 0x80043C0E
	;; [unrolled: 1-line block ×18, first 2 shown]
.long 0xBF800001
.long 0x0A606028
	;; [unrolled: 1-line block ×18, first 2 shown]
.long 0xD0CC0030, 0x0001003E
.long 0xD1000028, 0x00C250F2
	;; [unrolled: 1-line block ×28, first 2 shown]
.long 0xBEC41E3A
.long 0x7E600304
	;; [unrolled: 1-line block ×12, first 2 shown]
.long 0xE07C1000, 0x8003300D
.long 0xE07C1010, 0x8003340D
.long 0xBF8C0F71
.long 0xD0CC0030, 0x0001003E
.long 0xD1000028, 0x00C250F2
	;; [unrolled: 1-line block ×28, first 2 shown]
.long 0xBEC41E3A
.long 0x7E800304
	;; [unrolled: 1-line block ×12, first 2 shown]
.long 0xE07C1000, 0x8003400D
.long 0xE07C1010, 0x8003440D
.long 0xBF800000
.long 0x9246FF22, 0x00000074
.long 0x80104610
.long 0x82118011
.long 0xE05C1000, 0x8004180E
.long 0xE05C1010, 0x80041C0E
	;; [unrolled: 1-line block ×4, first 2 shown]
.long 0x241E1E82
.long 0xD9FE0000, 0x2000000F
.long 0xD9FE0010, 0x2400000F
	;; [unrolled: 1-line block ×4, first 2 shown]
.long 0x8E468222
.long 0x80104610
	;; [unrolled: 1-line block ×3, first 2 shown]
.long 0xE05C1000, 0x8004380E
.long 0xE05C1010, 0x80043C0E
	;; [unrolled: 1-line block ×18, first 2 shown]
.long 0xBF800001
.long 0x0A606028
	;; [unrolled: 1-line block ×18, first 2 shown]
.long 0xD0CC0030, 0x0001003E
.long 0xD1000028, 0x00C250F2
	;; [unrolled: 1-line block ×28, first 2 shown]
.long 0xBEC41E3A
.long 0x7E600304
	;; [unrolled: 1-line block ×9, first 2 shown]
.long 0x9246FF20, 0x00000074
.long 0x800C460C
.long 0x820D800D
.long 0xE07C1000, 0x8003300D
.long 0xE07C1010, 0x8003340D
.long 0xBF8C0F71
.long 0xD0CC0030, 0x0001003E
.long 0xD1000028, 0x00C250F2
	;; [unrolled: 1-line block ×28, first 2 shown]
.long 0xBEC41E3A
.long 0x7E800304
	;; [unrolled: 1-line block ×12, first 2 shown]
.long 0xE07C1000, 0x8003400D
.long 0xE07C1010, 0x8003440D
.long 0xBF800000
.long 0x8E468222
.long 0x80104610
.long 0x82118011
.long 0xE05C1000, 0x8004180E
.long 0xE05C1010, 0x80041C0E
	;; [unrolled: 1-line block ×4, first 2 shown]
.long 0x241E1E82
.long 0xD9FE0000, 0x2000000F
.long 0xD9FE0010, 0x2400000F
	;; [unrolled: 1-line block ×4, first 2 shown]
.long 0x8E468222
.long 0x80104610
	;; [unrolled: 1-line block ×3, first 2 shown]
.long 0xE05C1000, 0x8004380E
.long 0xE05C1010, 0x80043C0E
	;; [unrolled: 1-line block ×18, first 2 shown]
.long 0xBF800001
.long 0x0A606028
.long 0x0A626228
.long 0x0A646428
.long 0x0A666628
.long 0x0A686828
.long 0x0A6A6A28
.long 0x0A6C6C28
.long 0x0A6E6E28
.long 0x0A808028
.long 0x0A828228
.long 0x0A848428
.long 0x0A868628
.long 0x0A888828
.long 0x0A8A8A28
.long 0x0A8C8C28
.long 0x0A8E8E28
.long 0xBF8C0072
.long 0xD0CC0030, 0x0001003E
.long 0xD1000028, 0x00C250F2
	;; [unrolled: 1-line block ×28, first 2 shown]
.long 0xBEC41E3A
.long 0x7E600304
	;; [unrolled: 1-line block ×12, first 2 shown]
.long 0xE07C1000, 0x8003300D
.long 0xE07C1010, 0x8003340D
.long 0xBF8C0F71
.long 0xD0CC0030, 0x0001003E
.long 0xD1000028, 0x00C250F2
	;; [unrolled: 1-line block ×28, first 2 shown]
.long 0xBEC41E3A
.long 0x7E800304
	;; [unrolled: 1-line block ×12, first 2 shown]
.long 0xE07C1000, 0x8003400D
.long 0xE07C1010, 0x8003440D
.long 0xBF800000
.long 0x9246FF22, 0x00000074
.long 0x80104610
.long 0x82118011
.long 0xE05C1000, 0x8004180E
.long 0xE05C1010, 0x80041C0E
	;; [unrolled: 1-line block ×4, first 2 shown]
.long 0x241E1E82
.long 0xD9FE0000, 0x2000000F
.long 0xD9FE0010, 0x2400000F
	;; [unrolled: 1-line block ×4, first 2 shown]
.long 0x8E468222
.long 0x80104610
	;; [unrolled: 1-line block ×3, first 2 shown]
.long 0xE05C1000, 0x8004380E
.long 0xE05C1010, 0x80043C0E
	;; [unrolled: 1-line block ×18, first 2 shown]
.long 0xBF800001
.long 0x0A606028
	;; [unrolled: 1-line block ×18, first 2 shown]
.long 0xD0CC0030, 0x0001003E
.long 0xD1000028, 0x00C250F2
.long 0xD1000029, 0x00C252F2
.long 0xD3B14030, 0x18026128
.long 0xD0CC0030, 0x0001003E
.long 0xD100002A, 0x00C254F2
.long 0xD100002B, 0x00C256F2
.long 0xD3B14032, 0x1802652A
.long 0xD0CC0030, 0x0001003E
.long 0xD100002C, 0x00C258F2
.long 0xD100002D, 0x00C25AF2
.long 0xD3B14034, 0x1802692C
.long 0xD0CC0030, 0x0001003E
.long 0xD100002E, 0x00C25CF2
.long 0xD100002F, 0x00C25EF2
.long 0xD3B14036, 0x18026D2E
.long 0xD13B0030, 0x00005318
.long 0xD13B0031, 0x00005319
.long 0xD13B0032, 0x0000531A
.long 0xD13B0033, 0x0000531B
.long 0xD13B0034, 0x0000531C
.long 0xD13B0035, 0x0000531D
.long 0xD13B0036, 0x0000531E
.long 0xD13B0037, 0x0000531F
.long 0xD3B24004, 0x18026120
.long 0xD3B24006, 0x18026522
.long 0xD3B24008, 0x18026924
.long 0xD3B2400A, 0x18026D26
.long 0xBEC41E3A
.long 0x7E600304
	;; [unrolled: 1-line block ×9, first 2 shown]
.long 0x9246FF20, 0x00000074
.long 0x800C460C
.long 0x820D800D
.long 0xE07C1000, 0x8003300D
.long 0xE07C1010, 0x8003340D
.long 0xBF8C0F71
.long 0xD0CC0030, 0x0001003E
.long 0xD1000028, 0x00C250F2
	;; [unrolled: 1-line block ×28, first 2 shown]
.long 0xBEC41E3A
.long 0x7E800304
	;; [unrolled: 1-line block ×12, first 2 shown]
.long 0xE07C1000, 0x8003400D
.long 0xE07C1010, 0x8003440D
.long 0xBF800000
.long 0x8E468222
	;; [unrolled: 1-line block ×4, first 2 shown]
.long 0xE05C1000, 0x8004180E
.long 0xE05C1010, 0x80041C0E
	;; [unrolled: 1-line block ×4, first 2 shown]
.long 0x241E1E82
.long 0xD9FE0000, 0x2000000F
.long 0xD9FE0010, 0x2400000F
	;; [unrolled: 1-line block ×4, first 2 shown]
.long 0x8E468222
.long 0x80104610
	;; [unrolled: 1-line block ×3, first 2 shown]
.long 0xE05C1000, 0x8004380E
.long 0xE05C1010, 0x80043C0E
	;; [unrolled: 1-line block ×18, first 2 shown]
.long 0xBF800001
.long 0x0A606028
	;; [unrolled: 1-line block ×18, first 2 shown]
.long 0xD0CC0030, 0x0001003E
.long 0xD1000028, 0x00C250F2
	;; [unrolled: 1-line block ×28, first 2 shown]
.long 0xBEC41E3A
.long 0x7E600304
	;; [unrolled: 1-line block ×12, first 2 shown]
.long 0xE07C1000, 0x8003300D
.long 0xE07C1010, 0x8003340D
.long 0xBF8C0F71
.long 0xD0CC0030, 0x0001003E
.long 0xD1000028, 0x00C250F2
	;; [unrolled: 1-line block ×28, first 2 shown]
.long 0xBEC41E3A
.long 0x7E800304
	;; [unrolled: 1-line block ×12, first 2 shown]
.long 0xE07C1000, 0x8003400D
.long 0xE07C1010, 0x8003440D
.long 0xBF800000
.long 0x9246FF22, 0x00000074
.long 0x80104610
.long 0x82118011
.long 0xE05C1000, 0x8004180E
.long 0xE05C1010, 0x80041C0E
	;; [unrolled: 1-line block ×4, first 2 shown]
.long 0x241E1E82
.long 0xD9FE0000, 0x2000000F
.long 0xD9FE0010, 0x2400000F
	;; [unrolled: 1-line block ×4, first 2 shown]
.long 0x8E468222
.long 0x80104610
	;; [unrolled: 1-line block ×3, first 2 shown]
.long 0xE05C1000, 0x8004380E
.long 0xE05C1010, 0x80043C0E
	;; [unrolled: 1-line block ×18, first 2 shown]
.long 0xBF800001
.long 0x0A606028
	;; [unrolled: 1-line block ×18, first 2 shown]
.long 0xD0CC0030, 0x0001003E
.long 0xD1000028, 0x00C250F2
	;; [unrolled: 1-line block ×28, first 2 shown]
.long 0xBEC41E3A
.long 0x7E600304
	;; [unrolled: 1-line block ×9, first 2 shown]
.long 0x9246FF20, 0x00000074
.long 0x800C460C
.long 0x820D800D
.long 0xE07C1000, 0x8003300D
.long 0xE07C1010, 0x8003340D
.long 0xBF8C0F71
.long 0xD0CC0030, 0x0001003E
.long 0xD1000028, 0x00C250F2
	;; [unrolled: 1-line block ×28, first 2 shown]
.long 0xBEC41E3A
.long 0x7E800304
	;; [unrolled: 1-line block ×12, first 2 shown]
.long 0xE07C1000, 0x8003400D
.long 0xE07C1010, 0x8003440D
.long 0xBF800000
.long 0x8E468222
	;; [unrolled: 1-line block ×4, first 2 shown]
.long 0xE05C1000, 0x8004180E
.long 0xE05C1010, 0x80041C0E
	;; [unrolled: 1-line block ×4, first 2 shown]
.long 0x241E1E82
.long 0xD9FE0000, 0x2000000F
.long 0xD9FE0010, 0x2400000F
	;; [unrolled: 1-line block ×4, first 2 shown]
.long 0x8E468222
.long 0x80104610
	;; [unrolled: 1-line block ×3, first 2 shown]
.long 0xE05C1000, 0x8004380E
.long 0xE05C1010, 0x80043C0E
	;; [unrolled: 1-line block ×18, first 2 shown]
.long 0xBF800001
.long 0x0A606028
	;; [unrolled: 1-line block ×18, first 2 shown]
.long 0xD0CC0030, 0x0001003E
.long 0xD1000028, 0x00C250F2
	;; [unrolled: 1-line block ×28, first 2 shown]
.long 0xBEC41E3A
.long 0x7E600304
	;; [unrolled: 1-line block ×12, first 2 shown]
.long 0xE07C1000, 0x8003300D
.long 0xE07C1010, 0x8003340D
.long 0xBF8C0F71
.long 0xD0CC0030, 0x0001003E
.long 0xD1000028, 0x00C250F2
	;; [unrolled: 1-line block ×28, first 2 shown]
.long 0xBEC41E3A
.long 0x7E800304
	;; [unrolled: 1-line block ×12, first 2 shown]
.long 0xE07C1000, 0x8003400D
.long 0xE07C1010, 0x8003440D
.long 0xBF800000
.long 0x9246FF22, 0x00000074
.long 0x80104610
.long 0x82118011
.long 0xE05C1000, 0x8004180E
.long 0xE05C1010, 0x80041C0E
	;; [unrolled: 1-line block ×4, first 2 shown]
.long 0x241E1E82
.long 0xD9FE0000, 0x2000000F
.long 0xD9FE0010, 0x2400000F
	;; [unrolled: 1-line block ×4, first 2 shown]
.long 0x8E468222
.long 0x80104610
.long 0x82118011
.long 0xE05C1000, 0x8004380E
.long 0xE05C1010, 0x80043C0E
.long 0x7E600380
.long 0x7E620384
	;; [unrolled: 1-line block ×34, first 2 shown]
.long 0xD0CC0030, 0x0001003E
.long 0xD1000028, 0x00C250F2
	;; [unrolled: 1-line block ×28, first 2 shown]
.long 0xBEC41E3A
.long 0x7E600304
	;; [unrolled: 1-line block ×9, first 2 shown]
.long 0x9246FF20, 0x00000074
.long 0x800C460C
.long 0x820D800D
.long 0xE07C1000, 0x8003300D
.long 0xE07C1010, 0x8003340D
.long 0xBF8C0F71
.long 0xD0CC0030, 0x0001003E
.long 0xD1000028, 0x00C250F2
.long 0xD1000029, 0x00C252F2
.long 0xD3B14040, 0x18028128
.long 0xD0CC0030, 0x0001003E
.long 0xD100002A, 0x00C254F2
.long 0xD100002B, 0x00C256F2
.long 0xD3B14042, 0x1802852A
.long 0xD0CC0030, 0x0001003E
.long 0xD100002C, 0x00C258F2
.long 0xD100002D, 0x00C25AF2
.long 0xD3B14044, 0x1802892C
.long 0xD0CC0030, 0x0001003E
.long 0xD100002E, 0x00C25CF2
.long 0xD100002F, 0x00C25EF2
.long 0xD3B14046, 0x18028D2E
.long 0xD13B0040, 0x00005338
.long 0xD13B0041, 0x00005339
.long 0xD13B0042, 0x0000533A
.long 0xD13B0043, 0x0000533B
.long 0xD13B0044, 0x0000533C
.long 0xD13B0045, 0x0000533D
.long 0xD13B0046, 0x0000533E
.long 0xD13B0047, 0x0000533F
.long 0xD3B24004, 0x18028120
.long 0xD3B24006, 0x18028522
.long 0xD3B24008, 0x18028924
.long 0xD3B2400A, 0x18028D26
.long 0xBEC41E3A
.long 0x7E800304
	;; [unrolled: 1-line block ×12, first 2 shown]
.long 0xE07C1000, 0x8003400D
.long 0xE07C1010, 0x8003440D
.long 0xBF800000
.long 0x8E468222
	;; [unrolled: 1-line block ×4, first 2 shown]
.long 0xE05C1000, 0x8004180E
.long 0xE05C1010, 0x80041C0E
	;; [unrolled: 1-line block ×4, first 2 shown]
.long 0x241E1E82
.long 0xD9FE0000, 0x2000000F
.long 0xD9FE0010, 0x2400000F
	;; [unrolled: 1-line block ×4, first 2 shown]
.long 0x8E468222
.long 0x80104610
	;; [unrolled: 1-line block ×3, first 2 shown]
.long 0xE05C1000, 0x8004380E
.long 0xE05C1010, 0x80043C0E
.long 0x7E600382
.long 0x7E620386
	;; [unrolled: 1-line block ×34, first 2 shown]
.long 0xD0CC0030, 0x0001003E
.long 0xD1000028, 0x00C250F2
	;; [unrolled: 1-line block ×28, first 2 shown]
.long 0xBEC41E3A
.long 0x7E600304
	;; [unrolled: 1-line block ×12, first 2 shown]
.long 0xE07C1000, 0x8003300D
.long 0xE07C1010, 0x8003340D
.long 0xBF8C0F71
.long 0xD0CC0030, 0x0001003E
.long 0xD1000028, 0x00C250F2
.long 0xD1000029, 0x00C252F2
.long 0xD3B14040, 0x18028128
.long 0xD0CC0030, 0x0001003E
.long 0xD100002A, 0x00C254F2
.long 0xD100002B, 0x00C256F2
.long 0xD3B14042, 0x1802852A
.long 0xD0CC0030, 0x0001003E
.long 0xD100002C, 0x00C258F2
.long 0xD100002D, 0x00C25AF2
.long 0xD3B14044, 0x1802892C
.long 0xD0CC0030, 0x0001003E
.long 0xD100002E, 0x00C25CF2
.long 0xD100002F, 0x00C25EF2
.long 0xD3B14046, 0x18028D2E
.long 0xD13B0040, 0x00005338
.long 0xD13B0041, 0x00005339
.long 0xD13B0042, 0x0000533A
.long 0xD13B0043, 0x0000533B
.long 0xD13B0044, 0x0000533C
.long 0xD13B0045, 0x0000533D
.long 0xD13B0046, 0x0000533E
.long 0xD13B0047, 0x0000533F
.long 0xD3B24004, 0x18028120
.long 0xD3B24006, 0x18028522
.long 0xD3B24008, 0x18028924
.long 0xD3B2400A, 0x18028D26
.long 0xBEC41E3A
.long 0x7E800304
	;; [unrolled: 1-line block ×12, first 2 shown]
.long 0xE07C1000, 0x8003400D
.long 0xE07C1010, 0x8003440D
.long 0xBF800000
.long 0x9246FF22, 0x00000074
.long 0x80104610
.long 0x82118011
.long 0xE05C1000, 0x8004180E
.long 0xE05C1010, 0x80041C0E
	;; [unrolled: 1-line block ×4, first 2 shown]
.long 0x241E1E82
.long 0xD9FE0000, 0x2000000F
.long 0xD9FE0010, 0x2400000F
	;; [unrolled: 1-line block ×4, first 2 shown]
.long 0x8E468222
.long 0x80104610
	;; [unrolled: 1-line block ×3, first 2 shown]
.long 0xE05C1000, 0x8004380E
.long 0xE05C1010, 0x80043C0E
.long 0x7E6003A0
.long 0x7E6203A4
.long 0x7E6403A8
.long 0x7E6603AC
.long 0x7E6803B0
.long 0x7E6A03B4
.long 0x7E6C03B8
.long 0x7E6E03BC
.long 0x7E8003A1
.long 0x7E8203A5
.long 0x7E8403A9
.long 0x7E8603AD
.long 0x7E8803B1
.long 0x7E8A03B5
.long 0x7E8C03B9
.long 0x7E8E03BD
.long 0xBF800001
.long 0x0A606028
.long 0x0A626228
.long 0x0A646428
.long 0x0A666628
.long 0x0A686828
.long 0x0A6A6A28
.long 0x0A6C6C28
.long 0x0A6E6E28
.long 0x0A808028
.long 0x0A828228
.long 0x0A848428
.long 0x0A868628
.long 0x0A888828
.long 0x0A8A8A28
.long 0x0A8C8C28
.long 0x0A8E8E28
.long 0xBF8C0072
.long 0xD0CC0030, 0x0001003E
.long 0xD1000028, 0x00C250F2
	;; [unrolled: 1-line block ×28, first 2 shown]
.long 0xBEC41E3A
.long 0x7E600304
	;; [unrolled: 1-line block ×9, first 2 shown]
.long 0x9246FF20, 0x00000074
.long 0x800C460C
.long 0x820D800D
.long 0xE07C1000, 0x8003300D
.long 0xE07C1010, 0x8003340D
.long 0xBF8C0F71
.long 0xD0CC0030, 0x0001003E
.long 0xD1000028, 0x00C250F2
.long 0xD1000029, 0x00C252F2
.long 0xD3B14040, 0x18028128
.long 0xD0CC0030, 0x0001003E
.long 0xD100002A, 0x00C254F2
.long 0xD100002B, 0x00C256F2
.long 0xD3B14042, 0x1802852A
.long 0xD0CC0030, 0x0001003E
.long 0xD100002C, 0x00C258F2
.long 0xD100002D, 0x00C25AF2
.long 0xD3B14044, 0x1802892C
.long 0xD0CC0030, 0x0001003E
.long 0xD100002E, 0x00C25CF2
.long 0xD100002F, 0x00C25EF2
.long 0xD3B14046, 0x18028D2E
.long 0xD13B0040, 0x00005338
.long 0xD13B0041, 0x00005339
.long 0xD13B0042, 0x0000533A
.long 0xD13B0043, 0x0000533B
.long 0xD13B0044, 0x0000533C
.long 0xD13B0045, 0x0000533D
.long 0xD13B0046, 0x0000533E
.long 0xD13B0047, 0x0000533F
.long 0xD3B24004, 0x18028120
.long 0xD3B24006, 0x18028522
.long 0xD3B24008, 0x18028924
.long 0xD3B2400A, 0x18028D26
.long 0xBEC41E3A
.long 0x7E800304
	;; [unrolled: 1-line block ×12, first 2 shown]
.long 0xE07C1000, 0x8003400D
.long 0xE07C1010, 0x8003440D
.long 0xBF800000
.long 0x8E468222
	;; [unrolled: 1-line block ×4, first 2 shown]
.long 0xE05C1000, 0x8004180E
.long 0xE05C1010, 0x80041C0E
	;; [unrolled: 1-line block ×4, first 2 shown]
.long 0x241E1E82
.long 0xD9FE0000, 0x2000000F
.long 0xD9FE0010, 0x2400000F
	;; [unrolled: 1-line block ×4, first 2 shown]
.long 0x8E468222
.long 0x80104610
	;; [unrolled: 1-line block ×3, first 2 shown]
.long 0xE05C1000, 0x8004380E
.long 0xE05C1010, 0x80043C0E
.long 0x7E6003A2
.long 0x7E6203A6
	;; [unrolled: 1-line block ×34, first 2 shown]
.long 0xD0CC0030, 0x0001003E
.long 0xD1000028, 0x00C250F2
	;; [unrolled: 1-line block ×28, first 2 shown]
.long 0xBEC41E3A
.long 0x7E600304
	;; [unrolled: 1-line block ×12, first 2 shown]
.long 0xE07C1000, 0x8003300D
.long 0xE07C1010, 0x8003340D
.long 0xBF8C0F71
.long 0xD0CC0030, 0x0001003E
.long 0xD1000028, 0x00C250F2
	;; [unrolled: 1-line block ×28, first 2 shown]
.long 0xBEC41E3A
.long 0x7E800304
.long 0x7E820305
.long 0x7E840306
.long 0x7E860307
.long 0x7E880308
.long 0x7E8A0309
.long 0x7E8C030A
.long 0x7E8E030B
.long 0x8E468220
.long 0x800C460C
.long 0x820D800D
.long 0xE07C1000, 0x8003400D
.long 0xE07C1010, 0x8003440D
.long 0xBF800000
.long 0x9246FF22, 0x00000074
.long 0x80104610
.long 0x82118011
.long 0xE05C1000, 0x8004180E
.long 0xE05C1010, 0x80041C0E
	;; [unrolled: 1-line block ×4, first 2 shown]
.long 0x241E1E82
.long 0xD9FE0000, 0x2000000F
.long 0xD9FE0010, 0x2400000F
	;; [unrolled: 1-line block ×4, first 2 shown]
.long 0x8E468222
.long 0x80104610
	;; [unrolled: 1-line block ×3, first 2 shown]
.long 0xE05C1000, 0x8004380E
.long 0xE05C1010, 0x80043C0E
.long 0x7E6003C0
.long 0x7E6203C4
	;; [unrolled: 1-line block ×34, first 2 shown]
.long 0xD0CC0030, 0x0001003E
.long 0xD1000028, 0x00C250F2
	;; [unrolled: 1-line block ×28, first 2 shown]
.long 0xBEC41E3A
.long 0x7E600304
	;; [unrolled: 1-line block ×9, first 2 shown]
.long 0x9246FF20, 0x00000074
.long 0x800C460C
.long 0x820D800D
.long 0xE07C1000, 0x8003300D
.long 0xE07C1010, 0x8003340D
.long 0xBF8C0F71
.long 0xD0CC0030, 0x0001003E
.long 0xD1000028, 0x00C250F2
	;; [unrolled: 1-line block ×28, first 2 shown]
.long 0xBEC41E3A
.long 0x7E800304
	;; [unrolled: 1-line block ×12, first 2 shown]
.long 0xE07C1000, 0x8003400D
.long 0xE07C1010, 0x8003440D
.long 0xBF800000
.long 0x8E468222
	;; [unrolled: 1-line block ×4, first 2 shown]
.long 0xE05C1000, 0x8004180E
.long 0xE05C1010, 0x80041C0E
	;; [unrolled: 1-line block ×4, first 2 shown]
.long 0x241E1E82
.long 0xD9FE0000, 0x2000000F
.long 0xD9FE0010, 0x2400000F
	;; [unrolled: 1-line block ×4, first 2 shown]
.long 0x8E468222
.long 0x80104610
	;; [unrolled: 1-line block ×3, first 2 shown]
.long 0xE05C1000, 0x8004380E
.long 0xE05C1010, 0x80043C0E
.long 0x7E6003C2
.long 0x7E6203C6
	;; [unrolled: 1-line block ×34, first 2 shown]
.long 0xD0CC0030, 0x0001003E
.long 0xD1000028, 0x00C250F2
	;; [unrolled: 1-line block ×28, first 2 shown]
.long 0xBEC41E3A
.long 0x7E600304
	;; [unrolled: 1-line block ×12, first 2 shown]
.long 0xE07C1000, 0x8003300D
.long 0xE07C1010, 0x8003340D
.long 0xBF8C0F71
.long 0xD0CC0030, 0x0001003E
.long 0xD1000028, 0x00C250F2
	;; [unrolled: 1-line block ×28, first 2 shown]
.long 0xBEC41E3A
.long 0x7E800304
	;; [unrolled: 1-line block ×12, first 2 shown]
.long 0xE07C1000, 0x8003400D
.long 0xE07C1010, 0x8003440D
.long 0xBF800000
.long 0x9246FF22, 0x00000074
.long 0x80104610
.long 0x82118011
.long 0xE05C1000, 0x8004180E
.long 0xE05C1010, 0x80041C0E
	;; [unrolled: 1-line block ×4, first 2 shown]
.long 0x241E1E82
.long 0xD9FE0000, 0x2000000F
.long 0xD9FE0010, 0x2400000F
	;; [unrolled: 1-line block ×4, first 2 shown]
.long 0x8E468222
.long 0x80104610
	;; [unrolled: 1-line block ×3, first 2 shown]
.long 0xE05C1000, 0x8004380E
.long 0xE05C1010, 0x80043C0E
.long 0x7E6003E0
.long 0x7E6203E4
	;; [unrolled: 1-line block ×34, first 2 shown]
.long 0xD0CC0030, 0x0001003E
.long 0xD1000028, 0x00C250F2
	;; [unrolled: 1-line block ×28, first 2 shown]
.long 0xBEC41E3A
.long 0x7E600304
	;; [unrolled: 1-line block ×9, first 2 shown]
.long 0x9246FF20, 0x00000074
.long 0x800C460C
.long 0x820D800D
.long 0xE07C1000, 0x8003300D
.long 0xE07C1010, 0x8003340D
.long 0xBF8C0F71
.long 0xD0CC0030, 0x0001003E
.long 0xD1000028, 0x00C250F2
	;; [unrolled: 1-line block ×28, first 2 shown]
.long 0xBEC41E3A
.long 0x7E800304
	;; [unrolled: 1-line block ×12, first 2 shown]
.long 0xE07C1000, 0x8003400D
.long 0xE07C1010, 0x8003440D
.long 0xBF800000
.long 0x8E468222
.long 0x80104610
.long 0x82118011
.long 0xE05C1000, 0x8004180E
.long 0xE05C1010, 0x80041C0E
	;; [unrolled: 1-line block ×4, first 2 shown]
.long 0x241E1E82
.long 0xD9FE0000, 0x2000000F
.long 0xD9FE0010, 0x2400000F
	;; [unrolled: 1-line block ×4, first 2 shown]
.long 0x8E468222
.long 0x80104610
	;; [unrolled: 1-line block ×3, first 2 shown]
.long 0xE05C1000, 0x8004380E
.long 0xE05C1010, 0x80043C0E
.long 0x7E6003E2
.long 0x7E6203E6
	;; [unrolled: 1-line block ×34, first 2 shown]
.long 0xD0CC0030, 0x0001003E
.long 0xD1000028, 0x00C250F2
	;; [unrolled: 1-line block ×28, first 2 shown]
.long 0xBEC41E3A
.long 0x7E600304
	;; [unrolled: 1-line block ×12, first 2 shown]
.long 0xE07C1000, 0x8003300D
.long 0xE07C1010, 0x8003340D
.long 0xBF8C0F71
.long 0xD0CC0030, 0x0001003E
.long 0xD1000028, 0x00C250F2
	;; [unrolled: 1-line block ×28, first 2 shown]
.long 0xBEC41E3A
.long 0x7E800304
	;; [unrolled: 1-line block ×12, first 2 shown]
.long 0xE07C1000, 0x8003400D
.long 0xE07C1010, 0x8003440D
.long 0xBF800000
.long 0xBF821A0C
.long 0x7E6602FF, 0x80000000
.long 0xD0C90046, 0x00002900
	;; [unrolled: 1-line block ×3, first 2 shown]
.long 0x86CA4A46
.long 0xD1FE000D, 0x020A0102
.long 0xD100000D, 0x012A1B33
	;; [unrolled: 1-line block ×6, first 2 shown]
.long 0x241C1C82
.long 0xD100000E, 0x012A1D33
.long 0xBF8CC07F
.long 0xBF8A0000
.long 0xD9FE0000, 0x1800000E
.long 0xD9FE0010, 0x1C00000E
.long 0x241E0082
.long 0xE05C1000, 0x800F200F
.long 0xE05C1010, 0x800F240F
	;; [unrolled: 1-line block ×9, first 2 shown]
.long 0x86CA4A46
.long 0xD1FE0030, 0x020A0102
.long 0xD1000030, 0x012A6133
	;; [unrolled: 1-line block ×6, first 2 shown]
.long 0x24626282
.long 0xD1000031, 0x012A6333
.long 0x24640082
.long 0xD1FE0030, 0x020A0103
.long 0xD1000030, 0x012A6133
	;; [unrolled: 1-line block ×18, first 2 shown]
.long 0xBF800001
.long 0x0A505028
	;; [unrolled: 1-line block ×18, first 2 shown]
.long 0xD0CC0030, 0x0001003E
.long 0xD1000020, 0x00C240F2
	;; [unrolled: 1-line block ×28, first 2 shown]
.long 0xBEC41E3A
.long 0x7E500304
	;; [unrolled: 1-line block ×9, first 2 shown]
.long 0xE07C1000, 0x8003280D
.long 0xE07C1010, 0x80032C0D
	;; [unrolled: 1-line block ×30, first 2 shown]
.long 0xBEC41E3A
.long 0x7E800304
	;; [unrolled: 1-line block ×9, first 2 shown]
.long 0xE07C1000, 0x80034030
.long 0xE07C1010, 0x80034430
.long 0xBF800000
.long 0x7E6602FF, 0x80000000
.long 0xD1196A01, 0x00010301
	;; [unrolled: 1-line block ×6, first 2 shown]
.long 0x86CA4A46
.long 0xD1FE000D, 0x020A0102
.long 0xD100000D, 0x012A1B33
	;; [unrolled: 1-line block ×6, first 2 shown]
.long 0x241C1C82
.long 0xD100000E, 0x012A1D33
.long 0xD9FE0000, 0x1800000E
	;; [unrolled: 1-line block ×3, first 2 shown]
.long 0x241E0082
.long 0xE05C1000, 0x800F200F
.long 0xE05C1010, 0x800F240F
.long 0xD1FE000D, 0x020A0103
.long 0xD100000D, 0x012A1B33
.long 0xD1196A01, 0x00010301
.long 0xD1340002, 0x00004502
.long 0xD1340003, 0x00004103
.long 0xD0C90046, 0x00002900
.long 0xD0C9004A, 0x00002B01
.long 0x86CA4A46
.long 0xD1FE0030, 0x020A0102
.long 0xD1000030, 0x012A6133
	;; [unrolled: 1-line block ×6, first 2 shown]
.long 0x24626282
.long 0xD1000031, 0x012A6333
.long 0x24640082
.long 0xD1FE0030, 0x020A0103
.long 0xD1000030, 0x012A6133
	;; [unrolled: 1-line block ×18, first 2 shown]
.long 0xBF800001
.long 0x0A505028
	;; [unrolled: 1-line block ×18, first 2 shown]
.long 0xD0CC0030, 0x0001003E
.long 0xD1000020, 0x00C240F2
	;; [unrolled: 1-line block ×28, first 2 shown]
.long 0xBEC41E3A
.long 0x7E500304
	;; [unrolled: 1-line block ×9, first 2 shown]
.long 0xE07C1000, 0x8003280D
.long 0xE07C1010, 0x80032C0D
	;; [unrolled: 1-line block ×30, first 2 shown]
.long 0xBEC41E3A
.long 0x7E800304
	;; [unrolled: 1-line block ×9, first 2 shown]
.long 0xE07C1000, 0x80034030
.long 0xE07C1010, 0x80034430
.long 0xBF800000
.long 0x7E6602FF, 0x80000000
.long 0xD1196A01, 0x00013B01
.long 0x92469D22
.long 0xD1340002, 0x00008D02
.long 0x92469D20
.long 0xD1340003, 0x00008D03
.long 0xD0C90046, 0x00002900
	;; [unrolled: 1-line block ×3, first 2 shown]
.long 0x86CA4A46
.long 0xD1FE000D, 0x020A0102
.long 0xD100000D, 0x012A1B33
	;; [unrolled: 1-line block ×6, first 2 shown]
.long 0x241C1C82
.long 0xD100000E, 0x012A1D33
.long 0xD9FE0000, 0x1800000E
	;; [unrolled: 1-line block ×3, first 2 shown]
.long 0x241E0082
.long 0xE05C1000, 0x800F200F
.long 0xE05C1010, 0x800F240F
	;; [unrolled: 1-line block ×9, first 2 shown]
.long 0x86CA4A46
.long 0xD1FE0030, 0x020A0102
.long 0xD1000030, 0x012A6133
	;; [unrolled: 1-line block ×6, first 2 shown]
.long 0x24626282
.long 0xD1000031, 0x012A6333
.long 0x24640082
.long 0xD1FE0030, 0x020A0103
.long 0xD1000030, 0x012A6133
.long 0xD3D84028, 0x18000120
.long 0xD3D84029, 0x18000124
.long 0xD3D8402A, 0x18000128
.long 0xD3D8402B, 0x1800012C
.long 0xD3D8402C, 0x18000130
.long 0xD3D8402D, 0x18000134
.long 0xD3D8402E, 0x18000138
.long 0xD3D8402F, 0x1800013C
.long 0xD3D84040, 0x18000121
.long 0xD3D84041, 0x18000125
.long 0xD3D84042, 0x18000129
.long 0xD3D84043, 0x1800012D
.long 0xD3D84044, 0x18000131
.long 0xD3D84045, 0x18000135
.long 0xD3D84046, 0x18000139
.long 0xD3D84047, 0x1800013D
.long 0xBF800001
.long 0x0A505028
	;; [unrolled: 1-line block ×18, first 2 shown]
.long 0xD0CC0030, 0x0001003E
.long 0xD1000020, 0x00C240F2
	;; [unrolled: 1-line block ×28, first 2 shown]
.long 0xBEC41E3A
.long 0x7E500304
	;; [unrolled: 1-line block ×9, first 2 shown]
.long 0xE07C1000, 0x8003280D
.long 0xE07C1010, 0x80032C0D
	;; [unrolled: 1-line block ×30, first 2 shown]
.long 0xBEC41E3A
.long 0x7E800304
	;; [unrolled: 1-line block ×9, first 2 shown]
.long 0xE07C1000, 0x80034030
.long 0xE07C1010, 0x80034430
.long 0xBF800000
.long 0x7E6602FF, 0x80000000
.long 0xD1196A01, 0x00010301
	;; [unrolled: 1-line block ×6, first 2 shown]
.long 0x86CA4A46
.long 0xD1FE000D, 0x020A0102
.long 0xD100000D, 0x012A1B33
	;; [unrolled: 1-line block ×6, first 2 shown]
.long 0x241C1C82
.long 0xD100000E, 0x012A1D33
.long 0xD9FE0000, 0x1800000E
	;; [unrolled: 1-line block ×3, first 2 shown]
.long 0x241E0082
.long 0xE05C1000, 0x800F200F
.long 0xE05C1010, 0x800F240F
	;; [unrolled: 1-line block ×9, first 2 shown]
.long 0x86CA4A46
.long 0xD1FE0030, 0x020A0102
.long 0xD1000030, 0x012A6133
	;; [unrolled: 1-line block ×6, first 2 shown]
.long 0x24626282
.long 0xD1000031, 0x012A6333
.long 0x24640082
.long 0xD1FE0030, 0x020A0103
.long 0xD1000030, 0x012A6133
	;; [unrolled: 1-line block ×18, first 2 shown]
.long 0xBF800001
.long 0x0A505028
	;; [unrolled: 1-line block ×18, first 2 shown]
.long 0xD0CC0030, 0x0001003E
.long 0xD1000020, 0x00C240F2
	;; [unrolled: 1-line block ×28, first 2 shown]
.long 0xBEC41E3A
.long 0x7E500304
	;; [unrolled: 1-line block ×9, first 2 shown]
.long 0xE07C1000, 0x8003280D
.long 0xE07C1010, 0x80032C0D
	;; [unrolled: 1-line block ×30, first 2 shown]
.long 0xBEC41E3A
.long 0x7E800304
	;; [unrolled: 1-line block ×9, first 2 shown]
.long 0xE07C1000, 0x80034030
.long 0xE07C1010, 0x80034430
.long 0xBF800000
.long 0x7E6602FF, 0x80000000
.long 0xD1196A01, 0x00013B01
.long 0x92469D22
.long 0xD1340002, 0x00008D02
.long 0x92469D20
.long 0xD1340003, 0x00008D03
.long 0xD0C90046, 0x00002900
	;; [unrolled: 1-line block ×3, first 2 shown]
.long 0x86CA4A46
.long 0xD1FE000D, 0x020A0102
.long 0xD100000D, 0x012A1B33
	;; [unrolled: 1-line block ×6, first 2 shown]
.long 0x241C1C82
.long 0xD100000E, 0x012A1D33
.long 0xD9FE0000, 0x1800000E
	;; [unrolled: 1-line block ×3, first 2 shown]
.long 0x241E0082
.long 0xE05C1000, 0x800F200F
.long 0xE05C1010, 0x800F240F
.long 0xD1FE000D, 0x020A0103
.long 0xD100000D, 0x012A1B33
.long 0xD1196A01, 0x00010301
.long 0xD1340002, 0x00004502
.long 0xD1340003, 0x00004103
.long 0xD0C90046, 0x00002900
.long 0xD0C9004A, 0x00002B01
.long 0x86CA4A46
.long 0xD1FE0030, 0x020A0102
.long 0xD1000030, 0x012A6133
	;; [unrolled: 1-line block ×6, first 2 shown]
.long 0x24626282
.long 0xD1000031, 0x012A6333
.long 0x24640082
.long 0xD1FE0030, 0x020A0103
.long 0xD1000030, 0x012A6133
	;; [unrolled: 1-line block ×18, first 2 shown]
.long 0xBF800001
.long 0x0A505028
	;; [unrolled: 1-line block ×18, first 2 shown]
.long 0xD0CC0030, 0x0001003E
.long 0xD1000020, 0x00C240F2
	;; [unrolled: 1-line block ×28, first 2 shown]
.long 0xBEC41E3A
.long 0x7E500304
	;; [unrolled: 1-line block ×9, first 2 shown]
.long 0xE07C1000, 0x8003280D
.long 0xE07C1010, 0x80032C0D
	;; [unrolled: 1-line block ×30, first 2 shown]
.long 0xBEC41E3A
.long 0x7E800304
	;; [unrolled: 1-line block ×9, first 2 shown]
.long 0xE07C1000, 0x80034030
.long 0xE07C1010, 0x80034430
.long 0xBF800000
.long 0x7E6602FF, 0x80000000
.long 0xD1196A01, 0x00010301
.long 0xD1340002, 0x00004502
.long 0xD1340003, 0x00004103
.long 0xD0C90046, 0x00002900
.long 0xD0C9004A, 0x00002B01
.long 0x86CA4A46
.long 0xD1FE000D, 0x020A0102
.long 0xD100000D, 0x012A1B33
.long 0xE05C1000, 0x8004100D
.long 0xE05C1010, 0x8004140D
.long 0x924602FF, 0x00000100
.long 0xD135000E, 0x00008D00
.long 0x241C1C82
.long 0xD100000E, 0x012A1D33
.long 0xD9FE0000, 0x1800000E
	;; [unrolled: 1-line block ×3, first 2 shown]
.long 0x241E0082
.long 0xE05C1000, 0x800F200F
.long 0xE05C1010, 0x800F240F
	;; [unrolled: 1-line block ×9, first 2 shown]
.long 0x86CA4A46
.long 0xD1FE0030, 0x020A0102
.long 0xD1000030, 0x012A6133
.long 0xE05C1000, 0x80043830
.long 0xE05C1010, 0x80043C30
.long 0x924602FF, 0x00000100
.long 0xD1350031, 0x00008D00
.long 0x24626282
.long 0xD1000031, 0x012A6333
.long 0x24640082
.long 0xD1FE0030, 0x020A0103
.long 0xD1000030, 0x012A6133
.long 0xD3D84028, 0x18000142
.long 0xD3D84029, 0x18000146
.long 0xD3D8402A, 0x1800014A
.long 0xD3D8402B, 0x1800014E
.long 0xD3D8402C, 0x18000152
.long 0xD3D8402D, 0x18000156
.long 0xD3D8402E, 0x1800015A
.long 0xD3D8402F, 0x1800015E
.long 0xD3D84040, 0x18000143
.long 0xD3D84041, 0x18000147
.long 0xD3D84042, 0x1800014B
.long 0xD3D84043, 0x1800014F
.long 0xD3D84044, 0x18000153
.long 0xD3D84045, 0x18000157
.long 0xD3D84046, 0x1800015B
.long 0xD3D84047, 0x1800015F
.long 0xBF800001
.long 0x0A505028
	;; [unrolled: 1-line block ×18, first 2 shown]
.long 0xD0CC0030, 0x0001003E
.long 0xD1000020, 0x00C240F2
	;; [unrolled: 1-line block ×28, first 2 shown]
.long 0xBEC41E3A
.long 0x7E500304
	;; [unrolled: 1-line block ×9, first 2 shown]
.long 0xE07C1000, 0x8003280D
.long 0xE07C1010, 0x80032C0D
	;; [unrolled: 1-line block ×30, first 2 shown]
.long 0xBEC41E3A
.long 0x7E800304
	;; [unrolled: 1-line block ×9, first 2 shown]
.long 0xE07C1000, 0x80034030
.long 0xE07C1010, 0x80034430
.long 0xBF800000
.long 0x7E6602FF, 0x80000000
.long 0xD1196A01, 0x00013B01
.long 0x92469D22
.long 0xD1340002, 0x00008D02
.long 0x92469D20
.long 0xD1340003, 0x00008D03
.long 0xD0C90046, 0x00002900
	;; [unrolled: 1-line block ×3, first 2 shown]
.long 0x86CA4A46
.long 0xD1FE000D, 0x020A0102
.long 0xD100000D, 0x012A1B33
	;; [unrolled: 1-line block ×6, first 2 shown]
.long 0x241C1C82
.long 0xD100000E, 0x012A1D33
.long 0xD9FE0000, 0x1800000E
	;; [unrolled: 1-line block ×3, first 2 shown]
.long 0x241E0082
.long 0xE05C1000, 0x800F200F
.long 0xE05C1010, 0x800F240F
	;; [unrolled: 1-line block ×9, first 2 shown]
.long 0x86CA4A46
.long 0xD1FE0030, 0x020A0102
.long 0xD1000030, 0x012A6133
	;; [unrolled: 1-line block ×6, first 2 shown]
.long 0x24626282
.long 0xD1000031, 0x012A6333
.long 0x24640082
.long 0xD1FE0030, 0x020A0103
.long 0xD1000030, 0x012A6133
	;; [unrolled: 1-line block ×18, first 2 shown]
.long 0xBF800001
.long 0x0A505028
	;; [unrolled: 1-line block ×18, first 2 shown]
.long 0xD0CC0030, 0x0001003E
.long 0xD1000020, 0x00C240F2
	;; [unrolled: 1-line block ×28, first 2 shown]
.long 0xBEC41E3A
.long 0x7E500304
	;; [unrolled: 1-line block ×9, first 2 shown]
.long 0xE07C1000, 0x8003280D
.long 0xE07C1010, 0x80032C0D
	;; [unrolled: 1-line block ×30, first 2 shown]
.long 0xBEC41E3A
.long 0x7E800304
	;; [unrolled: 1-line block ×9, first 2 shown]
.long 0xE07C1000, 0x80034030
.long 0xE07C1010, 0x80034430
.long 0xBF800000
.long 0x7E6602FF, 0x80000000
.long 0xD1196A01, 0x00010301
	;; [unrolled: 1-line block ×6, first 2 shown]
.long 0x86CA4A46
.long 0xD1FE000D, 0x020A0102
.long 0xD100000D, 0x012A1B33
	;; [unrolled: 1-line block ×6, first 2 shown]
.long 0x241C1C82
.long 0xD100000E, 0x012A1D33
.long 0xD9FE0000, 0x1800000E
	;; [unrolled: 1-line block ×3, first 2 shown]
.long 0x241E0082
.long 0xE05C1000, 0x800F200F
.long 0xE05C1010, 0x800F240F
	;; [unrolled: 1-line block ×9, first 2 shown]
.long 0x86CA4A46
.long 0xD1FE0030, 0x020A0102
.long 0xD1000030, 0x012A6133
.long 0xE05C1000, 0x80043830
.long 0xE05C1010, 0x80043C30
.long 0x924602FF, 0x00000100
.long 0xD1350031, 0x00008D00
.long 0x24626282
.long 0xD1000031, 0x012A6333
.long 0x24640082
.long 0xD1FE0030, 0x020A0103
.long 0xD1000030, 0x012A6133
	;; [unrolled: 1-line block ×18, first 2 shown]
.long 0xBF800001
.long 0x0A505028
	;; [unrolled: 1-line block ×18, first 2 shown]
.long 0xD0CC0030, 0x0001003E
.long 0xD1000020, 0x00C240F2
	;; [unrolled: 1-line block ×28, first 2 shown]
.long 0xBEC41E3A
.long 0x7E500304
	;; [unrolled: 1-line block ×9, first 2 shown]
.long 0xE07C1000, 0x8003280D
.long 0xE07C1010, 0x80032C0D
	;; [unrolled: 1-line block ×30, first 2 shown]
.long 0xBEC41E3A
.long 0x7E800304
	;; [unrolled: 1-line block ×9, first 2 shown]
.long 0xE07C1000, 0x80034030
.long 0xE07C1010, 0x80034430
.long 0xBF800000
.long 0x7E6602FF, 0x80000000
.long 0xD1196A01, 0x00013B01
.long 0x92469D22
.long 0xD1340002, 0x00008D02
.long 0x92469D20
.long 0xD1340003, 0x00008D03
.long 0xD0C90046, 0x00002900
	;; [unrolled: 1-line block ×3, first 2 shown]
.long 0x86CA4A46
.long 0xD1FE000D, 0x020A0102
.long 0xD100000D, 0x012A1B33
	;; [unrolled: 1-line block ×6, first 2 shown]
.long 0x241C1C82
.long 0xD100000E, 0x012A1D33
.long 0xD9FE0000, 0x1800000E
	;; [unrolled: 1-line block ×3, first 2 shown]
.long 0x241E0082
.long 0xE05C1000, 0x800F200F
.long 0xE05C1010, 0x800F240F
	;; [unrolled: 1-line block ×9, first 2 shown]
.long 0x86CA4A46
.long 0xD1FE0030, 0x020A0102
.long 0xD1000030, 0x012A6133
.long 0xE05C1000, 0x80043830
.long 0xE05C1010, 0x80043C30
.long 0x924602FF, 0x00000100
.long 0xD1350031, 0x00008D00
.long 0x24626282
.long 0xD1000031, 0x012A6333
.long 0x24640082
.long 0xD1FE0030, 0x020A0103
.long 0xD1000030, 0x012A6133
	;; [unrolled: 1-line block ×18, first 2 shown]
.long 0xBF800001
.long 0x0A505028
	;; [unrolled: 1-line block ×18, first 2 shown]
.long 0xD0CC0030, 0x0001003E
.long 0xD1000020, 0x00C240F2
	;; [unrolled: 1-line block ×28, first 2 shown]
.long 0xBEC41E3A
.long 0x7E500304
	;; [unrolled: 1-line block ×9, first 2 shown]
.long 0xE07C1000, 0x8003280D
.long 0xE07C1010, 0x80032C0D
	;; [unrolled: 1-line block ×30, first 2 shown]
.long 0xBEC41E3A
.long 0x7E800304
.long 0x7E820305
.long 0x7E840306
.long 0x7E860307
.long 0x7E880308
.long 0x7E8A0309
.long 0x7E8C030A
.long 0x7E8E030B
.long 0xE07C1000, 0x80034030
.long 0xE07C1010, 0x80034430
.long 0xBF800000
.long 0x7E6602FF, 0x80000000
.long 0xD1196A01, 0x00010301
	;; [unrolled: 1-line block ×6, first 2 shown]
.long 0x86CA4A46
.long 0xD1FE000D, 0x020A0102
.long 0xD100000D, 0x012A1B33
	;; [unrolled: 1-line block ×6, first 2 shown]
.long 0x241C1C82
.long 0xD100000E, 0x012A1D33
.long 0xD9FE0000, 0x1800000E
	;; [unrolled: 1-line block ×3, first 2 shown]
.long 0x241E0082
.long 0xE05C1000, 0x800F200F
.long 0xE05C1010, 0x800F240F
	;; [unrolled: 1-line block ×9, first 2 shown]
.long 0x86CA4A46
.long 0xD1FE0030, 0x020A0102
.long 0xD1000030, 0x012A6133
	;; [unrolled: 1-line block ×6, first 2 shown]
.long 0x24626282
.long 0xD1000031, 0x012A6333
.long 0x24640082
.long 0xD1FE0030, 0x020A0103
.long 0xD1000030, 0x012A6133
	;; [unrolled: 1-line block ×18, first 2 shown]
.long 0xBF800001
.long 0x0A505028
	;; [unrolled: 1-line block ×18, first 2 shown]
.long 0xD0CC0030, 0x0001003E
.long 0xD1000020, 0x00C240F2
	;; [unrolled: 1-line block ×28, first 2 shown]
.long 0xBEC41E3A
.long 0x7E500304
	;; [unrolled: 1-line block ×9, first 2 shown]
.long 0xE07C1000, 0x8003280D
.long 0xE07C1010, 0x80032C0D
	;; [unrolled: 1-line block ×30, first 2 shown]
.long 0xBEC41E3A
.long 0x7E800304
	;; [unrolled: 1-line block ×9, first 2 shown]
.long 0xE07C1000, 0x80034030
.long 0xE07C1010, 0x80034430
.long 0xBF800000
.long 0x7E6602FF, 0x80000000
.long 0xD1196A01, 0x00013B01
.long 0x92469D22
.long 0xD1340002, 0x00008D02
.long 0x92469D20
.long 0xD1340003, 0x00008D03
.long 0xD0C90046, 0x00002900
.long 0xD0C9004A, 0x00002B01
.long 0x86CA4A46
.long 0xD1FE000D, 0x020A0102
.long 0xD100000D, 0x012A1B33
	;; [unrolled: 1-line block ×6, first 2 shown]
.long 0x241C1C82
.long 0xD100000E, 0x012A1D33
.long 0xD9FE0000, 0x1800000E
	;; [unrolled: 1-line block ×3, first 2 shown]
.long 0x241E0082
.long 0xE05C1000, 0x800F200F
.long 0xE05C1010, 0x800F240F
	;; [unrolled: 1-line block ×9, first 2 shown]
.long 0x86CA4A46
.long 0xD1FE0030, 0x020A0102
.long 0xD1000030, 0x012A6133
	;; [unrolled: 1-line block ×6, first 2 shown]
.long 0x24626282
.long 0xD1000031, 0x012A6333
.long 0x24640082
.long 0xD1FE0030, 0x020A0103
.long 0xD1000030, 0x012A6133
	;; [unrolled: 1-line block ×18, first 2 shown]
.long 0xBF800001
.long 0x0A505028
	;; [unrolled: 1-line block ×18, first 2 shown]
.long 0xD0CC0030, 0x0001003E
.long 0xD1000020, 0x00C240F2
	;; [unrolled: 1-line block ×28, first 2 shown]
.long 0xBEC41E3A
.long 0x7E500304
	;; [unrolled: 1-line block ×9, first 2 shown]
.long 0xE07C1000, 0x8003280D
.long 0xE07C1010, 0x80032C0D
	;; [unrolled: 1-line block ×30, first 2 shown]
.long 0xBEC41E3A
.long 0x7E800304
	;; [unrolled: 1-line block ×9, first 2 shown]
.long 0xE07C1000, 0x80034030
.long 0xE07C1010, 0x80034430
.long 0xBF800000
.long 0x7E6602FF, 0x80000000
.long 0xD1196A01, 0x00010301
	;; [unrolled: 1-line block ×6, first 2 shown]
.long 0x86CA4A46
.long 0xD1FE000D, 0x020A0102
.long 0xD100000D, 0x012A1B33
	;; [unrolled: 1-line block ×6, first 2 shown]
.long 0x241C1C82
.long 0xD100000E, 0x012A1D33
.long 0xD9FE0000, 0x1800000E
	;; [unrolled: 1-line block ×3, first 2 shown]
.long 0x241E0082
.long 0xE05C1000, 0x800F200F
.long 0xE05C1010, 0x800F240F
.long 0xD1FE000D, 0x020A0103
.long 0xD100000D, 0x012A1B33
.long 0xD1196A01, 0x00010301
.long 0xD1340002, 0x00004502
.long 0xD1340003, 0x00004103
.long 0xD0C90046, 0x00002900
.long 0xD0C9004A, 0x00002B01
.long 0x86CA4A46
.long 0xD1FE0030, 0x020A0102
.long 0xD1000030, 0x012A6133
	;; [unrolled: 1-line block ×6, first 2 shown]
.long 0x24626282
.long 0xD1000031, 0x012A6333
.long 0x24640082
.long 0xD1FE0030, 0x020A0103
.long 0xD1000030, 0x012A6133
	;; [unrolled: 1-line block ×18, first 2 shown]
.long 0xBF800001
.long 0x0A505028
	;; [unrolled: 1-line block ×18, first 2 shown]
.long 0xD0CC0030, 0x0001003E
.long 0xD1000020, 0x00C240F2
	;; [unrolled: 1-line block ×28, first 2 shown]
.long 0xBEC41E3A
.long 0x7E500304
	;; [unrolled: 1-line block ×9, first 2 shown]
.long 0xE07C1000, 0x8003280D
.long 0xE07C1010, 0x80032C0D
	;; [unrolled: 1-line block ×30, first 2 shown]
.long 0xBEC41E3A
.long 0x7E800304
	;; [unrolled: 1-line block ×9, first 2 shown]
.long 0xE07C1000, 0x80034030
.long 0xE07C1010, 0x80034430
.long 0xBF800000
.long 0x7E6602FF, 0x80000000
.long 0xD1196A01, 0x00013B01
.long 0x92469D22
.long 0xD1340002, 0x00008D02
.long 0x92469D20
.long 0xD1340003, 0x00008D03
.long 0xD0C90046, 0x00002900
	;; [unrolled: 1-line block ×3, first 2 shown]
.long 0x86CA4A46
.long 0xD1FE000D, 0x020A0102
.long 0xD100000D, 0x012A1B33
	;; [unrolled: 1-line block ×6, first 2 shown]
.long 0x241C1C82
.long 0xD100000E, 0x012A1D33
.long 0xD9FE0000, 0x1800000E
	;; [unrolled: 1-line block ×3, first 2 shown]
.long 0x241E0082
.long 0xE05C1000, 0x800F200F
.long 0xE05C1010, 0x800F240F
.long 0xD1FE000D, 0x020A0103
.long 0xD100000D, 0x012A1B33
.long 0xD1196A01, 0x00010301
.long 0xD1340002, 0x00004502
.long 0xD1340003, 0x00004103
.long 0xD0C90046, 0x00002900
.long 0xD0C9004A, 0x00002B01
.long 0x86CA4A46
.long 0xD1FE0030, 0x020A0102
.long 0xD1000030, 0x012A6133
	;; [unrolled: 1-line block ×6, first 2 shown]
.long 0x24626282
.long 0xD1000031, 0x012A6333
.long 0x24640082
.long 0xD1FE0030, 0x020A0103
.long 0xD1000030, 0x012A6133
	;; [unrolled: 1-line block ×18, first 2 shown]
.long 0xBF800001
.long 0x0A505028
	;; [unrolled: 1-line block ×18, first 2 shown]
.long 0xD0CC0030, 0x0001003E
.long 0xD1000020, 0x00C240F2
	;; [unrolled: 1-line block ×28, first 2 shown]
.long 0xBEC41E3A
.long 0x7E500304
	;; [unrolled: 1-line block ×9, first 2 shown]
.long 0xE07C1000, 0x8003280D
.long 0xE07C1010, 0x80032C0D
	;; [unrolled: 1-line block ×30, first 2 shown]
.long 0xBEC41E3A
.long 0x7E800304
.long 0x7E820305
.long 0x7E840306
.long 0x7E860307
.long 0x7E880308
.long 0x7E8A0309
.long 0x7E8C030A
.long 0x7E8E030B
.long 0xE07C1000, 0x80034030
.long 0xE07C1010, 0x80034430
.long 0xBF800000
.long 0x7E6602FF, 0x80000000
.long 0xD1196A01, 0x00010301
	;; [unrolled: 1-line block ×6, first 2 shown]
.long 0x86CA4A46
.long 0xD1FE000D, 0x020A0102
.long 0xD100000D, 0x012A1B33
	;; [unrolled: 1-line block ×6, first 2 shown]
.long 0x241C1C82
.long 0xD100000E, 0x012A1D33
.long 0xD9FE0000, 0x1800000E
	;; [unrolled: 1-line block ×3, first 2 shown]
.long 0x241E0082
.long 0xE05C1000, 0x800F200F
.long 0xE05C1010, 0x800F240F
	;; [unrolled: 1-line block ×9, first 2 shown]
.long 0x86CA4A46
.long 0xD1FE0030, 0x020A0102
.long 0xD1000030, 0x012A6133
	;; [unrolled: 1-line block ×6, first 2 shown]
.long 0x24626282
.long 0xD1000031, 0x012A6333
.long 0x24640082
.long 0xD1FE0030, 0x020A0103
.long 0xD1000030, 0x012A6133
	;; [unrolled: 1-line block ×18, first 2 shown]
.long 0xBF800001
.long 0x0A505028
.long 0x0A525228
.long 0x0A545428
.long 0x0A565628
.long 0x0A585828
.long 0x0A5A5A28
.long 0x0A5C5C28
.long 0x0A5E5E28
.long 0x0A808028
.long 0x0A828228
.long 0x0A848428
.long 0x0A868628
.long 0x0A888828
.long 0x0A8A8A28
.long 0x0A8C8C28
.long 0x0A8E8E28
.long 0xBF8C0000
.long 0xD0CC0030, 0x0001003E
.long 0xD1000020, 0x00C240F2
	;; [unrolled: 1-line block ×28, first 2 shown]
.long 0xBEC41E3A
.long 0x7E500304
	;; [unrolled: 1-line block ×9, first 2 shown]
.long 0xE07C1000, 0x8003280D
.long 0xE07C1010, 0x80032C0D
	;; [unrolled: 1-line block ×30, first 2 shown]
.long 0xBEC41E3A
.long 0x7E800304
	;; [unrolled: 1-line block ×9, first 2 shown]
.long 0xE07C1000, 0x80034030
.long 0xE07C1010, 0x80034430
.long 0xBF800000
.long 0x7E6602FF, 0x80000000
.long 0xD1196A01, 0x00013B01
.long 0x92469D22
.long 0xD1340002, 0x00008D02
.long 0x92469D20
.long 0xD1340003, 0x00008D03
.long 0xD0C90046, 0x00002900
	;; [unrolled: 1-line block ×3, first 2 shown]
.long 0x86CA4A46
.long 0xD1FE000D, 0x020A0102
.long 0xD100000D, 0x012A1B33
	;; [unrolled: 1-line block ×6, first 2 shown]
.long 0x241C1C82
.long 0xD100000E, 0x012A1D33
.long 0xD9FE0000, 0x1800000E
	;; [unrolled: 1-line block ×3, first 2 shown]
.long 0x241E0082
.long 0xE05C1000, 0x800F200F
.long 0xE05C1010, 0x800F240F
	;; [unrolled: 1-line block ×9, first 2 shown]
.long 0x86CA4A46
.long 0xD1FE0030, 0x020A0102
.long 0xD1000030, 0x012A6133
	;; [unrolled: 1-line block ×6, first 2 shown]
.long 0x24626282
.long 0xD1000031, 0x012A6333
.long 0x24640082
.long 0xD1FE0030, 0x020A0103
.long 0xD1000030, 0x012A6133
	;; [unrolled: 1-line block ×18, first 2 shown]
.long 0xBF800001
.long 0x0A505028
.long 0x0A525228
.long 0x0A545428
.long 0x0A565628
.long 0x0A585828
.long 0x0A5A5A28
.long 0x0A5C5C28
.long 0x0A5E5E28
.long 0x0A808028
.long 0x0A828228
.long 0x0A848428
.long 0x0A868628
.long 0x0A888828
.long 0x0A8A8A28
.long 0x0A8C8C28
.long 0x0A8E8E28
.long 0xBF8C0000
.long 0xD0CC0030, 0x0001003E
.long 0xD1000020, 0x00C240F2
	;; [unrolled: 1-line block ×28, first 2 shown]
.long 0xBEC41E3A
.long 0x7E500304
	;; [unrolled: 1-line block ×9, first 2 shown]
.long 0xE07C1000, 0x8003280D
.long 0xE07C1010, 0x80032C0D
	;; [unrolled: 1-line block ×30, first 2 shown]
.long 0xBEC41E3A
.long 0x7E800304
	;; [unrolled: 1-line block ×9, first 2 shown]
.long 0xE07C1000, 0x80034030
.long 0xE07C1010, 0x80034430
.long 0xBF800000
.long 0x7E6602FF, 0x80000000
.long 0xD1196A01, 0x00010301
	;; [unrolled: 1-line block ×6, first 2 shown]
.long 0x86CA4A46
.long 0xD1FE000D, 0x020A0102
.long 0xD100000D, 0x012A1B33
	;; [unrolled: 1-line block ×6, first 2 shown]
.long 0x241C1C82
.long 0xD100000E, 0x012A1D33
.long 0xD9FE0000, 0x1800000E
	;; [unrolled: 1-line block ×3, first 2 shown]
.long 0x241E0082
.long 0xE05C1000, 0x800F200F
.long 0xE05C1010, 0x800F240F
	;; [unrolled: 1-line block ×9, first 2 shown]
.long 0x86CA4A46
.long 0xD1FE0030, 0x020A0102
.long 0xD1000030, 0x012A6133
	;; [unrolled: 1-line block ×6, first 2 shown]
.long 0x24626282
.long 0xD1000031, 0x012A6333
.long 0x24640082
.long 0xD1FE0030, 0x020A0103
.long 0xD1000030, 0x012A6133
	;; [unrolled: 1-line block ×18, first 2 shown]
.long 0xBF800001
.long 0x0A505028
	;; [unrolled: 1-line block ×18, first 2 shown]
.long 0xD0CC0030, 0x0001003E
.long 0xD1000020, 0x00C240F2
	;; [unrolled: 1-line block ×28, first 2 shown]
.long 0xBEC41E3A
.long 0x7E500304
	;; [unrolled: 1-line block ×9, first 2 shown]
.long 0xE07C1000, 0x8003280D
.long 0xE07C1010, 0x80032C0D
	;; [unrolled: 1-line block ×30, first 2 shown]
.long 0xBEC41E3A
.long 0x7E800304
	;; [unrolled: 1-line block ×9, first 2 shown]
.long 0xE07C1000, 0x80034030
.long 0xE07C1010, 0x80034430
.long 0xBF800000
.long 0x7E6602FF, 0x80000000
.long 0xD1196A01, 0x00013B01
.long 0x92469D22
.long 0xD1340002, 0x00008D02
.long 0x92469D20
.long 0xD1340003, 0x00008D03
.long 0xD0C90046, 0x00002900
	;; [unrolled: 1-line block ×3, first 2 shown]
.long 0x86CA4A46
.long 0xD1FE000D, 0x020A0102
.long 0xD100000D, 0x012A1B33
	;; [unrolled: 1-line block ×6, first 2 shown]
.long 0x241C1C82
.long 0xD100000E, 0x012A1D33
.long 0xD9FE0000, 0x1800000E
	;; [unrolled: 1-line block ×3, first 2 shown]
.long 0x241E0082
.long 0xE05C1000, 0x800F200F
.long 0xE05C1010, 0x800F240F
	;; [unrolled: 1-line block ×9, first 2 shown]
.long 0x86CA4A46
.long 0xD1FE0030, 0x020A0102
.long 0xD1000030, 0x012A6133
	;; [unrolled: 1-line block ×6, first 2 shown]
.long 0x24626282
.long 0xD1000031, 0x012A6333
.long 0x24640082
.long 0xD1FE0030, 0x020A0103
.long 0xD1000030, 0x012A6133
.long 0x7E500380
.long 0x7E520384
	;; [unrolled: 1-line block ×34, first 2 shown]
.long 0xD0CC0030, 0x0001003E
.long 0xD1000020, 0x00C240F2
.long 0xD1000021, 0x00C242F2
.long 0xD3B14028, 0x18025120
.long 0xD0CC0030, 0x0001003E
.long 0xD1000022, 0x00C244F2
.long 0xD1000023, 0x00C246F2
.long 0xD3B1402A, 0x18025522
.long 0xD0CC0030, 0x0001003E
.long 0xD1000024, 0x00C248F2
.long 0xD1000025, 0x00C24AF2
.long 0xD3B1402C, 0x18025924
.long 0xD0CC0030, 0x0001003E
.long 0xD1000026, 0x00C24CF2
.long 0xD1000027, 0x00C24EF2
.long 0xD3B1402E, 0x18025D26
.long 0xD13B0028, 0x00005310
.long 0xD13B0029, 0x00005311
.long 0xD13B002A, 0x00005312
.long 0xD13B002B, 0x00005313
.long 0xD13B002C, 0x00005314
.long 0xD13B002D, 0x00005315
.long 0xD13B002E, 0x00005316
.long 0xD13B002F, 0x00005317
.long 0xD3B24004, 0x18025118
.long 0xD3B24006, 0x1802551A
.long 0xD3B24008, 0x1802591C
.long 0xD3B2400A, 0x18025D1E
.long 0xBEC41E3A
.long 0x7E500304
	;; [unrolled: 1-line block ×9, first 2 shown]
.long 0xE07C1000, 0x8003280D
.long 0xE07C1010, 0x80032C0D
	;; [unrolled: 1-line block ×30, first 2 shown]
.long 0xBEC41E3A
.long 0x7E800304
	;; [unrolled: 1-line block ×9, first 2 shown]
.long 0xE07C1000, 0x80034030
.long 0xE07C1010, 0x80034430
.long 0xBF800000
.long 0x7E6602FF, 0x80000000
.long 0xD1196A01, 0x00010301
	;; [unrolled: 1-line block ×6, first 2 shown]
.long 0x86CA4A46
.long 0xD1FE000D, 0x020A0102
.long 0xD100000D, 0x012A1B33
	;; [unrolled: 1-line block ×6, first 2 shown]
.long 0x241C1C82
.long 0xD100000E, 0x012A1D33
.long 0xD9FE0000, 0x1800000E
	;; [unrolled: 1-line block ×3, first 2 shown]
.long 0x241E0082
.long 0xE05C1000, 0x800F200F
.long 0xE05C1010, 0x800F240F
	;; [unrolled: 1-line block ×9, first 2 shown]
.long 0x86CA4A46
.long 0xD1FE0030, 0x020A0102
.long 0xD1000030, 0x012A6133
	;; [unrolled: 1-line block ×6, first 2 shown]
.long 0x24626282
.long 0xD1000031, 0x012A6333
.long 0x24640082
.long 0xD1FE0030, 0x020A0103
.long 0xD1000030, 0x012A6133
.long 0x7E500382
.long 0x7E520386
	;; [unrolled: 1-line block ×34, first 2 shown]
.long 0xD0CC0030, 0x0001003E
.long 0xD1000020, 0x00C240F2
	;; [unrolled: 1-line block ×28, first 2 shown]
.long 0xBEC41E3A
.long 0x7E500304
	;; [unrolled: 1-line block ×9, first 2 shown]
.long 0xE07C1000, 0x8003280D
.long 0xE07C1010, 0x80032C0D
	;; [unrolled: 1-line block ×30, first 2 shown]
.long 0xBEC41E3A
.long 0x7E800304
.long 0x7E820305
.long 0x7E840306
.long 0x7E860307
.long 0x7E880308
.long 0x7E8A0309
.long 0x7E8C030A
.long 0x7E8E030B
.long 0xE07C1000, 0x80034030
.long 0xE07C1010, 0x80034430
.long 0xBF800000
.long 0x7E6602FF, 0x80000000
.long 0xD1196A01, 0x00013B01
.long 0x92469D22
.long 0xD1340002, 0x00008D02
.long 0x92469D20
.long 0xD1340003, 0x00008D03
.long 0xD0C90046, 0x00002900
	;; [unrolled: 1-line block ×3, first 2 shown]
.long 0x86CA4A46
.long 0xD1FE000D, 0x020A0102
.long 0xD100000D, 0x012A1B33
	;; [unrolled: 1-line block ×6, first 2 shown]
.long 0x241C1C82
.long 0xD100000E, 0x012A1D33
.long 0xD9FE0000, 0x1800000E
	;; [unrolled: 1-line block ×3, first 2 shown]
.long 0x241E0082
.long 0xE05C1000, 0x800F200F
.long 0xE05C1010, 0x800F240F
.long 0xD1FE000D, 0x020A0103
.long 0xD100000D, 0x012A1B33
.long 0xD1196A01, 0x00010301
.long 0xD1340002, 0x00004502
.long 0xD1340003, 0x00004103
.long 0xD0C90046, 0x00002900
.long 0xD0C9004A, 0x00002B01
.long 0x86CA4A46
.long 0xD1FE0030, 0x020A0102
.long 0xD1000030, 0x012A6133
	;; [unrolled: 1-line block ×6, first 2 shown]
.long 0x24626282
.long 0xD1000031, 0x012A6333
.long 0x24640082
.long 0xD1FE0030, 0x020A0103
.long 0xD1000030, 0x012A6133
.long 0x7E5003A0
.long 0x7E5203A4
	;; [unrolled: 1-line block ×34, first 2 shown]
.long 0xD0CC0030, 0x0001003E
.long 0xD1000020, 0x00C240F2
	;; [unrolled: 1-line block ×28, first 2 shown]
.long 0xBEC41E3A
.long 0x7E500304
	;; [unrolled: 1-line block ×9, first 2 shown]
.long 0xE07C1000, 0x8003280D
.long 0xE07C1010, 0x80032C0D
	;; [unrolled: 1-line block ×30, first 2 shown]
.long 0xBEC41E3A
.long 0x7E800304
	;; [unrolled: 1-line block ×9, first 2 shown]
.long 0xE07C1000, 0x80034030
.long 0xE07C1010, 0x80034430
.long 0xBF800000
.long 0x7E6602FF, 0x80000000
.long 0xD1196A01, 0x00010301
	;; [unrolled: 1-line block ×6, first 2 shown]
.long 0x86CA4A46
.long 0xD1FE000D, 0x020A0102
.long 0xD100000D, 0x012A1B33
.long 0xE05C1000, 0x8004100D
.long 0xE05C1010, 0x8004140D
.long 0x924602FF, 0x00000100
.long 0xD135000E, 0x00008D00
.long 0x241C1C82
.long 0xD100000E, 0x012A1D33
.long 0xD9FE0000, 0x1800000E
	;; [unrolled: 1-line block ×3, first 2 shown]
.long 0x241E0082
.long 0xE05C1000, 0x800F200F
.long 0xE05C1010, 0x800F240F
	;; [unrolled: 1-line block ×9, first 2 shown]
.long 0x86CA4A46
.long 0xD1FE0030, 0x020A0102
.long 0xD1000030, 0x012A6133
.long 0xE05C1000, 0x80043830
.long 0xE05C1010, 0x80043C30
.long 0x924602FF, 0x00000100
.long 0xD1350031, 0x00008D00
.long 0x24626282
.long 0xD1000031, 0x012A6333
.long 0x24640082
.long 0xD1FE0030, 0x020A0103
.long 0xD1000030, 0x012A6133
.long 0x7E5003A2
.long 0x7E5203A6
	;; [unrolled: 1-line block ×34, first 2 shown]
.long 0xD0CC0030, 0x0001003E
.long 0xD1000020, 0x00C240F2
	;; [unrolled: 1-line block ×28, first 2 shown]
.long 0xBEC41E3A
.long 0x7E500304
	;; [unrolled: 1-line block ×9, first 2 shown]
.long 0xE07C1000, 0x8003280D
.long 0xE07C1010, 0x80032C0D
	;; [unrolled: 1-line block ×30, first 2 shown]
.long 0xBEC41E3A
.long 0x7E800304
	;; [unrolled: 1-line block ×9, first 2 shown]
.long 0xE07C1000, 0x80034030
.long 0xE07C1010, 0x80034430
.long 0xBF800000
.long 0x7E6602FF, 0x80000000
.long 0xD1196A01, 0x00013B01
.long 0x92469D22
.long 0xD1340002, 0x00008D02
.long 0x92469D20
.long 0xD1340003, 0x00008D03
.long 0xD0C90046, 0x00002900
	;; [unrolled: 1-line block ×3, first 2 shown]
.long 0x86CA4A46
.long 0xD1FE000D, 0x020A0102
.long 0xD100000D, 0x012A1B33
	;; [unrolled: 1-line block ×6, first 2 shown]
.long 0x241C1C82
.long 0xD100000E, 0x012A1D33
.long 0xD9FE0000, 0x1800000E
	;; [unrolled: 1-line block ×3, first 2 shown]
.long 0x241E0082
.long 0xE05C1000, 0x800F200F
.long 0xE05C1010, 0x800F240F
	;; [unrolled: 1-line block ×9, first 2 shown]
.long 0x86CA4A46
.long 0xD1FE0030, 0x020A0102
.long 0xD1000030, 0x012A6133
	;; [unrolled: 1-line block ×6, first 2 shown]
.long 0x24626282
.long 0xD1000031, 0x012A6333
.long 0x24640082
.long 0xD1FE0030, 0x020A0103
.long 0xD1000030, 0x012A6133
.long 0x7E5003C0
.long 0x7E5203C4
	;; [unrolled: 1-line block ×34, first 2 shown]
.long 0xD0CC0030, 0x0001003E
.long 0xD1000020, 0x00C240F2
	;; [unrolled: 1-line block ×28, first 2 shown]
.long 0xBEC41E3A
.long 0x7E500304
	;; [unrolled: 1-line block ×9, first 2 shown]
.long 0xE07C1000, 0x8003280D
.long 0xE07C1010, 0x80032C0D
	;; [unrolled: 1-line block ×30, first 2 shown]
.long 0xBEC41E3A
.long 0x7E800304
	;; [unrolled: 1-line block ×9, first 2 shown]
.long 0xE07C1000, 0x80034030
.long 0xE07C1010, 0x80034430
.long 0xBF800000
.long 0x7E6602FF, 0x80000000
.long 0xD1196A01, 0x00010301
	;; [unrolled: 1-line block ×6, first 2 shown]
.long 0x86CA4A46
.long 0xD1FE000D, 0x020A0102
.long 0xD100000D, 0x012A1B33
	;; [unrolled: 1-line block ×6, first 2 shown]
.long 0x241C1C82
.long 0xD100000E, 0x012A1D33
.long 0xD9FE0000, 0x1800000E
	;; [unrolled: 1-line block ×3, first 2 shown]
.long 0x241E0082
.long 0xE05C1000, 0x800F200F
.long 0xE05C1010, 0x800F240F
	;; [unrolled: 1-line block ×9, first 2 shown]
.long 0x86CA4A46
.long 0xD1FE0030, 0x020A0102
.long 0xD1000030, 0x012A6133
	;; [unrolled: 1-line block ×6, first 2 shown]
.long 0x24626282
.long 0xD1000031, 0x012A6333
.long 0x24640082
.long 0xD1FE0030, 0x020A0103
.long 0xD1000030, 0x012A6133
.long 0x7E5003C2
.long 0x7E5203C6
	;; [unrolled: 1-line block ×34, first 2 shown]
.long 0xD0CC0030, 0x0001003E
.long 0xD1000020, 0x00C240F2
	;; [unrolled: 1-line block ×28, first 2 shown]
.long 0xBEC41E3A
.long 0x7E500304
	;; [unrolled: 1-line block ×9, first 2 shown]
.long 0xE07C1000, 0x8003280D
.long 0xE07C1010, 0x80032C0D
	;; [unrolled: 1-line block ×30, first 2 shown]
.long 0xBEC41E3A
.long 0x7E800304
	;; [unrolled: 1-line block ×9, first 2 shown]
.long 0xE07C1000, 0x80034030
.long 0xE07C1010, 0x80034430
.long 0xBF800000
.long 0x7E6602FF, 0x80000000
.long 0xD1196A01, 0x00013B01
.long 0x92469D22
.long 0xD1340002, 0x00008D02
.long 0x92469D20
.long 0xD1340003, 0x00008D03
.long 0xD0C90046, 0x00002900
	;; [unrolled: 1-line block ×3, first 2 shown]
.long 0x86CA4A46
.long 0xD1FE000D, 0x020A0102
.long 0xD100000D, 0x012A1B33
	;; [unrolled: 1-line block ×6, first 2 shown]
.long 0x241C1C82
.long 0xD100000E, 0x012A1D33
.long 0xD9FE0000, 0x1800000E
	;; [unrolled: 1-line block ×3, first 2 shown]
.long 0x241E0082
.long 0xE05C1000, 0x800F200F
.long 0xE05C1010, 0x800F240F
	;; [unrolled: 1-line block ×9, first 2 shown]
.long 0x86CA4A46
.long 0xD1FE0030, 0x020A0102
.long 0xD1000030, 0x012A6133
	;; [unrolled: 1-line block ×6, first 2 shown]
.long 0x24626282
.long 0xD1000031, 0x012A6333
.long 0x24640082
.long 0xD1FE0030, 0x020A0103
.long 0xD1000030, 0x012A6133
.long 0x7E5003E0
.long 0x7E5203E4
	;; [unrolled: 1-line block ×34, first 2 shown]
.long 0xD0CC0030, 0x0001003E
.long 0xD1000020, 0x00C240F2
.long 0xD1000021, 0x00C242F2
.long 0xD3B14028, 0x18025120
.long 0xD0CC0030, 0x0001003E
.long 0xD1000022, 0x00C244F2
.long 0xD1000023, 0x00C246F2
.long 0xD3B1402A, 0x18025522
.long 0xD0CC0030, 0x0001003E
.long 0xD1000024, 0x00C248F2
.long 0xD1000025, 0x00C24AF2
.long 0xD3B1402C, 0x18025924
.long 0xD0CC0030, 0x0001003E
.long 0xD1000026, 0x00C24CF2
.long 0xD1000027, 0x00C24EF2
.long 0xD3B1402E, 0x18025D26
.long 0xD13B0028, 0x00005310
.long 0xD13B0029, 0x00005311
.long 0xD13B002A, 0x00005312
.long 0xD13B002B, 0x00005313
.long 0xD13B002C, 0x00005314
.long 0xD13B002D, 0x00005315
.long 0xD13B002E, 0x00005316
.long 0xD13B002F, 0x00005317
.long 0xD3B24004, 0x18025118
.long 0xD3B24006, 0x1802551A
.long 0xD3B24008, 0x1802591C
.long 0xD3B2400A, 0x18025D1E
.long 0xBEC41E3A
.long 0x7E500304
	;; [unrolled: 1-line block ×9, first 2 shown]
.long 0xE07C1000, 0x8003280D
.long 0xE07C1010, 0x80032C0D
	;; [unrolled: 1-line block ×30, first 2 shown]
.long 0xBEC41E3A
.long 0x7E800304
	;; [unrolled: 1-line block ×9, first 2 shown]
.long 0xE07C1000, 0x80034030
.long 0xE07C1010, 0x80034430
.long 0xBF800000
.long 0x7E6602FF, 0x80000000
.long 0xD1196A01, 0x00010301
	;; [unrolled: 1-line block ×6, first 2 shown]
.long 0x86CA4A46
.long 0xD1FE000D, 0x020A0102
.long 0xD100000D, 0x012A1B33
	;; [unrolled: 1-line block ×6, first 2 shown]
.long 0x241C1C82
.long 0xD100000E, 0x012A1D33
.long 0xD9FE0000, 0x1800000E
	;; [unrolled: 1-line block ×3, first 2 shown]
.long 0x241E0082
.long 0xE05C1000, 0x800F200F
.long 0xE05C1010, 0x800F240F
	;; [unrolled: 1-line block ×9, first 2 shown]
.long 0x86CA4A46
.long 0xD1FE0030, 0x020A0102
.long 0xD1000030, 0x012A6133
.long 0xE05C1000, 0x80043830
.long 0xE05C1010, 0x80043C30
.long 0x924602FF, 0x00000100
.long 0xD1350031, 0x00008D00
.long 0x24626282
.long 0xD1000031, 0x012A6333
.long 0x24640082
.long 0xD1FE0030, 0x020A0103
.long 0xD1000030, 0x012A6133
.long 0x7E5003E2
.long 0x7E5203E6
	;; [unrolled: 1-line block ×34, first 2 shown]
.long 0xD0CC0030, 0x0001003E
.long 0xD1000020, 0x00C240F2
	;; [unrolled: 1-line block ×28, first 2 shown]
.long 0xBEC41E3A
.long 0x7E500304
	;; [unrolled: 1-line block ×9, first 2 shown]
.long 0xE07C1000, 0x8003280D
.long 0xE07C1010, 0x80032C0D
	;; [unrolled: 1-line block ×30, first 2 shown]
.long 0xBEC41E3A
.long 0x7E800304
	;; [unrolled: 1-line block ×9, first 2 shown]
.long 0xE07C1000, 0x80034030
.long 0xE07C1010, 0x80034430
.long 0xBF800000
.long 0xBF820201
	;; [unrolled: 1-line block ×3, first 2 shown]
.long 0x260808FF, 0x7FFFFFFF
.long 0x260A0AFF, 0x7FFFFFFF
	;; [unrolled: 1-line block ×8, first 2 shown]
.long 0xBE801D44
.long 0xD044006A, 0x00006D04
.long 0x14080837
.long 0x00080880
.long 0xD044006A, 0x00006D05
.long 0x140A0A37
	;; [unrolled: 3-line block ×8, first 2 shown]
.long 0x00161680
.long 0xBE801D44
.long 0x0A1808FF, 0x3D372713
.long 0xD1CB000C, 0x03CA1904
.long 0x0A181904
.long 0x0A1818FF, 0x40135761
.long 0x7E18410C
.long 0xBF800000
.long 0x021818F2
.long 0x7E18450C
.long 0xBF800000
.long 0xD1CB000C, 0x03D218F5
.long 0x0A181904
.long 0x0A0818F0
.long 0x0A180AFF, 0x3D372713
.long 0xD1CB000C, 0x03CA1905
.long 0x0A181905
.long 0x0A1818FF, 0x40135761
.long 0x7E18410C
.long 0xBF800000
.long 0x021818F2
.long 0x7E18450C
.long 0xBF800000
.long 0xD1CB000C, 0x03D218F5
	;; [unrolled: 12-line block ×8, first 2 shown]
.long 0x0A18190B
.long 0x0A1618F0
	;; [unrolled: 1-line block ×4, first 2 shown]
.long 0xD046006A, 0x00010104
.long 0x0008090C
.long 0x0A180A36
.long 0xD046006A, 0x00010105
.long 0x000A0B0C
.long 0x0A180C36
	;; [unrolled: 3-line block ×8, first 2 shown]
.long 0xD10B0004, 0x00010104
.long 0xD10B0005, 0x00010105
.long 0xD10B0006, 0x00010106
.long 0xD10B0007, 0x00010107
.long 0xD10B0008, 0x00010108
.long 0xD10B0009, 0x00010109
.long 0xD10B000A, 0x0001010A
.long 0xD10B000B, 0x0001010B
.long 0xBE801D44
.long 0x0A0808FF, 0xBFB8AA3B
.long 0x7E084104
.long 0xBF800000
.long 0x020808F2
.long 0x7E084504
.long 0xBF800000
.long 0x0A0A0AFF, 0xBFB8AA3B
.long 0x7E0A4105
.long 0xBF800000
.long 0x020A0AF2
.long 0x7E0A4505
	;; [unrolled: 6-line block ×8, first 2 shown]
.long 0xBF800000
.long 0xBE801D44
	;; [unrolled: 1-line block ×3, first 2 shown]
.long 0x0A0808FF, 0x4038AA3B
.long 0x7E084104
.long 0xBF800000
.long 0x020808F2
.long 0x7E084504
.long 0xBF800000
.long 0xD1CB0004, 0x03CA08F5
.long 0x0A080837
.long 0x0A0A0A36
.long 0x0A0A0AFF, 0x4038AA3B
.long 0x7E0A4105
.long 0xBF800000
.long 0x020A0AF2
.long 0x7E0A4505
.long 0xBF800000
.long 0xD1CB0005, 0x03CA0AF5
.long 0x0A0A0A37
.long 0x0A0C0C36
	;; [unrolled: 9-line block ×8, first 2 shown]
.long 0x0A1808FF, 0x3D372713
.long 0xD1CB000C, 0x03CA1904
.long 0x0A181904
.long 0x0A1818FF, 0x40135761
.long 0x7E18410C
.long 0xBF800000
.long 0x021818F2
.long 0x7E18450C
.long 0xBF800000
.long 0xD1CB000C, 0x03D218F5
.long 0x0A181904
.long 0x0A1818F0
.long 0x0A081836
.long 0x0A180AFF, 0x3D372713
.long 0xD1CB000C, 0x03CA1905
.long 0x0A181905
.long 0x0A1818FF, 0x40135761
.long 0x7E18410C
.long 0xBF800000
.long 0x021818F2
.long 0x7E18450C
.long 0xBF800000
.long 0xD1CB000C, 0x03D218F5
.long 0x0A181905
.long 0x0A1818F0
.long 0x0A0A1836
	;; [unrolled: 13-line block ×8, first 2 shown]
.long 0xBE801D44
.long 0xBF810000
	;; [unrolled: 1-line block ×34, first 2 shown]
.long 0xBE8B00FF, 0x00000100
.long 0xD2850002, 0x0002040B
	;; [unrolled: 1-line block ×3, first 2 shown]
.long 0x20010488
.long 0xBE8B00FF, 0x00000140
.long 0xD2850000, 0x0002000B
	;; [unrolled: 1-line block ×3, first 2 shown]
.long 0x2004F287
.long 0x24040483
	;; [unrolled: 1-line block ×3, first 2 shown]
.long 0x32F2F2FF, 0x00004000
.long 0x260904BF
.long 0x20020885
	;; [unrolled: 1-line block ×13, first 2 shown]
.long 0x920BFF0B, 0x00000050
.long 0x6804040B
.long 0x24060682
.long 0x10B002FF, 0x00000100
.long 0xD1FE0058, 0x0206B100
.long 0x10B204A0
.long 0xD1FE0059, 0x0206B303
.long 0x2008B287
.long 0x24080883
	;; [unrolled: 1-line block ×3, first 2 shown]
.long 0x32B2B2FF, 0x00004000
.long 0xBF8CC07F
.long 0x809C881C
	;; [unrolled: 1-line block ×5, first 2 shown]
.long 0xD042006A, 0x00010028
.long 0xBF860001
.long 0xBE970080
.long 0xD2850004, 0x00020224
.long 0x32B40900
.long 0x68B4B488
	;; [unrolled: 1-line block ×5, first 2 shown]
.long 0xD2850004, 0x00020426
.long 0x32B60903
.long 0x68B6B684
	;; [unrolled: 1-line block ×19, first 2 shown]
.long 0x9245FF26, 0x00000048
.long 0x8E458145
.long 0x9649FF02, 0x00000100
.long 0x9248FF02, 0x00000100
.long 0xBECA0081
.long 0xBECB0080
	;; [unrolled: 1-line block ×24, first 2 shown]
.long 0xBEAF00FF, 0x00020000
.long 0x9649FF03, 0x00000180
	;; [unrolled: 1-line block ×3, first 2 shown]
.long 0x96492648
.long 0x92482648
.long 0xBECA0081
.long 0xBECB0080
.long 0x80C68117
.long 0x96474681
.long 0x92464681
.long 0x804A464A
.long 0x824B474B
.long 0x80C68115
.long 0x96474626
.long 0x92464626
.long 0x804A464A
.long 0x824B474B
.long 0x80B6484A
.long 0x82B7494B
.long 0x8EB68136
.long 0x80368836
.long 0x82378037
.long 0xBF068037
.long 0x8532C136
.long 0x96470427
.long 0x92460427
.long 0x80484648
.long 0x82494749
.long 0x8EC88148
.long 0x8030481E
.long 0x8231491F
.long 0xBEB300FF, 0x00020000
.long 0x9246A02A
.long 0x920B2446
	;; [unrolled: 1-line block ×8, first 2 shown]
.long 0xE0541000, 0x800B5C5A
.long 0xE0541000, 0x3A0B5E5A
	;; [unrolled: 1-line block ×14, first 2 shown]
.long 0x802C0B2C
.long 0x822D802D
	;; [unrolled: 1-line block ×14, first 2 shown]
.long 0xBE8E00FF, 0x80000000
.long 0xBE8F00FF, 0x00020000
.long 0xBE90001A
.long 0xBE91001B
.long 0xBE9200FF, 0x80000000
.long 0xBE9300FF, 0x00020000
	;; [unrolled: 1-line block ×3, first 2 shown]
.long 0x96472248
.long 0x92462248
	;; [unrolled: 1-line block ×20, first 2 shown]
.long 0xD3D94000, 0x18000080
.long 0xD3D94001, 0x18000080
	;; [unrolled: 1-line block ×256, first 2 shown]
.long 0x7F080280
.long 0x7F0A0280
	;; [unrolled: 1-line block ×67, first 2 shown]
.long 0x814884FF, 0x00001CD0
.long 0x80464846
.long 0x82478047
	;; [unrolled: 1-line block ×5, first 2 shown]
.long 0x7F00ACF9, 0x0004067A
.long 0x7EF814F9, 0x00061480
.long 0x7EF814F9, 0x00061581
.long 0x7F00ACF9, 0x0005067A
.long 0x7EFA14F9, 0x00061480
.long 0x7EFA14F9, 0x00061581
.long 0x7F00ACF9, 0x0004067B
.long 0x7EFC14F9, 0x00061480
.long 0x7EFC14F9, 0x00061581
.long 0x7F00ACF9, 0x0005067B
.long 0x7EFE14F9, 0x00061480
.long 0x7EFE14F9, 0x00061581
.long 0xD9BE0000, 0x00007C58
.long 0x7EF4715E
.long 0x7F00ACF9, 0x0004067A
.long 0x7EF814F9, 0x00061480
.long 0x7EF814F9, 0x00061581
.long 0x7F00ACF9, 0x0005067A
.long 0x7EFA14F9, 0x00061480
.long 0x7EFA14F9, 0x00061581
.long 0x7F00ACF9, 0x0004067B
.long 0x7EFC14F9, 0x00061480
.long 0x7EFC14F9, 0x00061581
.long 0x7F00ACF9, 0x0005067B
.long 0x7EFE14F9, 0x00061480
.long 0x7EFE14F9, 0x00061581
.long 0xD9BE0400, 0x00007C58
.long 0x7EF47160
.long 0x7F00ACF9, 0x0004067A
.long 0x7EF814F9, 0x00061480
.long 0x7EF814F9, 0x00061581
.long 0x7F00ACF9, 0x0005067A
.long 0x7EFA14F9, 0x00061480
.long 0x7EFA14F9, 0x00061581
.long 0x7F00ACF9, 0x0004067B
.long 0x7EFC14F9, 0x00061480
.long 0x7EFC14F9, 0x00061581
.long 0x7F00ACF9, 0x0005067B
.long 0x7EFE14F9, 0x00061480
.long 0x7EFE14F9, 0x00061581
.long 0xD9BE0800, 0x00007C58
.long 0x7EF47162
.long 0x7F00ACF9, 0x0004067A
.long 0x7EF814F9, 0x00061480
	;; [unrolled: 1-line block ×23, first 2 shown]
.long 0xBF068105
.long 0xBF85001C
.long 0xE0541000, 0x800B5C5A
.long 0xE0541000, 0x3A0B5E5A
	;; [unrolled: 1-line block ×14, first 2 shown]
.long 0xBF8CC07F
.long 0xBF8A0000
.long 0xD9FE0000, 0x10000078
.long 0xD9FE0200, 0x18000078
	;; [unrolled: 1-line block ×14, first 2 shown]
.long 0xBF068105
.long 0xBF8504D1
	;; [unrolled: 1-line block ×5, first 2 shown]
.long 0xD1ED0000, 0x00E22118
.long 0xD1ED0001, 0x00E24128
.long 0xD1ED0002, 0x00E62118
.long 0xD1ED0003, 0x00E64128
.long 0xD1ED0004, 0x00E22319
.long 0xD3CD8000, 0x04020130
.long 0xD9FE2000, 0x14000078
.long 0x802C0B2C
.long 0xD1ED0005, 0x00E24329
.long 0xD1ED0006, 0x00E62319
.long 0xD1ED0007, 0x00E64329
.long 0xD1ED0008, 0x00E2251A
.long 0xD1ED0009, 0x00E2452A
.long 0xD3CD8004, 0x04120530
.long 0xD9FE2200, 0x1C000078
.long 0x822D802D
	;; [unrolled: 8-line block ×3, first 2 shown]
.long 0xD1ED000F, 0x00E6472B
.long 0xD3CD800C, 0x04320D30
	;; [unrolled: 1-line block ×3, first 2 shown]
.long 0x82B58035
.long 0xD3CD8010, 0x04421130
.long 0xD8EC0020, 0x44000079
.long 0xBF068035
.long 0xD3CD8014, 0x04521530
.long 0xD8EC08A0, 0x46000079
	;; [unrolled: 3-line block ×9, first 2 shown]
.long 0xD3CD8034, 0x04D21532
.long 0xD8EC4CA0, 0x56000079
	;; [unrolled: 1-line block ×16, first 2 shown]
.long 0xBF8CC07F
.long 0xBF8A0000
.long 0xD3CD8070, 0x05C21136
.long 0xBF8C0F7D
.long 0x7EF4715C
.long 0xE0541000, 0x800B5C5A
.long 0xD3CD8074, 0x05D21536
.long 0x7F00ACF9, 0x0004067A
.long 0x7EF814F9, 0x00061480
.long 0x7EF814F9, 0x00061581
.long 0xD3CD8078, 0x05E21936
.long 0x7F00ACF9, 0x0005067A
.long 0x7EFA14F9, 0x00061480
.long 0x7EFA14F9, 0x00061581
.long 0xD3CD807C, 0x05F21D36
.long 0x7F00ACF9, 0x0004067B
.long 0x7EFC14F9, 0x00061480
.long 0x7EFC14F9, 0x00061581
.long 0xD3CD8080, 0x06020138
.long 0x7F00ACF9, 0x0005067B
.long 0x7EFE14F9, 0x00061480
.long 0x7EFE14F9, 0x00061581
.long 0xD3CD8084, 0x06120538
.long 0xD9BE0000, 0x00007C58
.long 0xD3CD8088, 0x06220938
.long 0xD3CD808C, 0x06320D38
.long 0xD3CD8090, 0x06421138
.long 0xBF8C0F7D
.long 0x7EF4715E
.long 0xE0541000, 0x3A0B5E5A
.long 0xD3CD8094, 0x06521538
.long 0x7F00ACF9, 0x0004067A
.long 0x7EF814F9, 0x00061480
.long 0x7EF814F9, 0x00061581
.long 0xD3CD8098, 0x06621938
.long 0x7F00ACF9, 0x0005067A
.long 0x7EFA14F9, 0x00061480
.long 0x7EFA14F9, 0x00061581
.long 0xD3CD809C, 0x06721D38
.long 0x7F00ACF9, 0x0004067B
.long 0x7EFC14F9, 0x00061480
.long 0x7EFC14F9, 0x00061581
.long 0xD3CD80A0, 0x0682013A
.long 0x7F00ACF9, 0x0005067B
.long 0x7EFE14F9, 0x00061480
.long 0x7EFE14F9, 0x00061581
.long 0xD3CD80A4, 0x0692053A
.long 0xD9BE0400, 0x00007C58
.long 0xD3CD80A8, 0x06A2093A
.long 0xD3CD80AC, 0x06B20D3A
	;; [unrolled: 24-line block ×3, first 2 shown]
.long 0xD3CD80D0, 0x0742113C
.long 0xD3CD80D4, 0x0752153C
.long 0xBF8C0F7D
.long 0x7EF47162
.long 0xE0541000, 0x3C0B625A
.long 0xD3CD80D8, 0x0762193C
	;; [unrolled: 1-line block ×22, first 2 shown]
.long 0xBF8C0F7D
.long 0xD89A0000, 0x00006459
.long 0xD3CD80F8, 0x07E2193E
	;; [unrolled: 1-line block ×10, first 2 shown]
.long 0xBF8C0F7D
.long 0xD89A0220, 0x00006659
.long 0xD3CD009C, 0x06721940
	;; [unrolled: 1-line block ×11, first 2 shown]
.long 0xBF8C0F7D
.long 0xD89A0440, 0x00006859
.long 0xD3CD00C0, 0x07021D42
	;; [unrolled: 1-line block ×3, first 2 shown]
.long 0xBF8CC77F
.long 0xD1ED0000, 0x00E2291C
.long 0xD1ED0001, 0x00E2492C
	;; [unrolled: 1-line block ×23, first 2 shown]
.long 0xBF8C0F7D
.long 0xD89A0660, 0x00006A59
.long 0xD3CD801C, 0x04721D44
.long 0xE0541000, 0x3F0C6A5B
.long 0xD3CD8020, 0x04820146
.long 0xD3CD8024, 0x04920546
.long 0xD3CD8028, 0x04A20946
.long 0xD3CD802C, 0x04B20D46
.long 0xD3CD8030, 0x04C21146
.long 0xD3CD8034, 0x04D21546
.long 0xD3CD8038, 0x04E21946
.long 0xBF8C0F7D
.long 0xD89A0880, 0x00006C59
.long 0xD3CD803C, 0x04F21D46
	;; [unrolled: 1-line block ×11, first 2 shown]
.long 0xBF8C0F7D
.long 0xD89A0AA0, 0x00006E59
.long 0xD3CD8060, 0x0582014A
.long 0xE0541000, 0x410C6E5B
.long 0xD3CD8064, 0x0592054A
.long 0xD3CD8068, 0x05A2094A
.long 0xD3CD806C, 0x05B20D4A
.long 0xD3CD8070, 0x05C2114A
.long 0xD3CD8074, 0x05D2154A
.long 0xD3CD8078, 0x05E2194A
.long 0xD3CD807C, 0x05F21D4A
.long 0xBF8C0F7D
.long 0xD89A0CC0, 0x00007059
.long 0xD3CD8080, 0x0602014C
.long 0xE0541000, 0x420C705B
.long 0xD3CD8084, 0x0612054C
.long 0xD3CD8088, 0x0622094C
.long 0xD3CD808C, 0x06320D4C
.long 0xD3CD8090, 0x0642114C
.long 0xD3CD8094, 0x0652154C
.long 0xD3CD8098, 0x0662194C
.long 0xD3CD809C, 0x06721D4C
	;; [unrolled: 11-line block ×3, first 2 shown]
.long 0xD3CD80C0, 0x07020150
.long 0xBF8C0F7D
.long 0xD89A1100, 0x00007459
.long 0xD3CD80C4, 0x07120550
	;; [unrolled: 1-line block ×10, first 2 shown]
.long 0xBF8C0F7D
.long 0xD89A1320, 0x00007659
.long 0xD3CD80E4, 0x07920552
	;; [unrolled: 1-line block ×5, first 2 shown]
.long 0xBF8CC07F
.long 0xBF8A0000
.long 0xD3CD80F0, 0x07C21152
.long 0xD9FE0000, 0x10000078
	;; [unrolled: 1-line block ×34, first 2 shown]
.long 0x80858105
.long 0xBF008205
	;; [unrolled: 1-line block ×4, first 2 shown]
.long 0xD1ED0000, 0x00E22118
.long 0xD1ED0001, 0x00E24128
.long 0xD1ED0002, 0x00E62118
.long 0xD1ED0003, 0x00E64128
.long 0xD1ED0004, 0x00E22319
.long 0xD3CD8000, 0x04020130
.long 0xD9FE2000, 0x14000078
.long 0x802C0B2C
.long 0xD1ED0005, 0x00E24329
.long 0xD1ED0006, 0x00E62319
.long 0xD1ED0007, 0x00E64329
.long 0xD1ED0008, 0x00E2251A
.long 0xD1ED0009, 0x00E2452A
.long 0xD3CD8004, 0x04120530
.long 0xD9FE2200, 0x1C000078
.long 0x822D802D
.long 0xD1ED000A, 0x00E6251A
.long 0xD1ED000B, 0x00E6452A
.long 0xD1ED000C, 0x00E2271B
.long 0xD1ED000D, 0x00E2472B
.long 0xD1ED000E, 0x00E6271B
.long 0xD3CD8008, 0x04220930
.long 0xD9FE2400, 0x24000078
.long 0x80B40B34
.long 0xD1ED000F, 0x00E6472B
.long 0xD3CD800C, 0x04320D30
	;; [unrolled: 1-line block ×3, first 2 shown]
.long 0x82B58035
.long 0xD3CD8010, 0x04421130
.long 0xD8EC0020, 0x44000079
.long 0xBF068035
.long 0xD3CD8014, 0x04521530
.long 0xD8EC08A0, 0x46000079
	;; [unrolled: 3-line block ×9, first 2 shown]
.long 0xD3CD8034, 0x04D21532
.long 0xD8EC4CA0, 0x56000079
	;; [unrolled: 1-line block ×16, first 2 shown]
.long 0xBF8CC07F
.long 0xBF8A0000
.long 0xD3CD8070, 0x05C21136
.long 0xBF8C0F7D
.long 0x7EF4715C
.long 0xD3CD8074, 0x05D21536
.long 0x7F00ACF9, 0x0004067A
.long 0x7EF814F9, 0x00061480
.long 0x7EF814F9, 0x00061581
.long 0xD3CD8078, 0x05E21936
.long 0x7F00ACF9, 0x0005067A
.long 0x7EFA14F9, 0x00061480
.long 0x7EFA14F9, 0x00061581
.long 0xD3CD807C, 0x05F21D36
.long 0x7F00ACF9, 0x0004067B
.long 0x7EFC14F9, 0x00061480
.long 0x7EFC14F9, 0x00061581
.long 0xD3CD8080, 0x06020138
.long 0x7F00ACF9, 0x0005067B
.long 0x7EFE14F9, 0x00061480
.long 0x7EFE14F9, 0x00061581
.long 0xD3CD8084, 0x06120538
.long 0xD9BE0000, 0x00007C58
.long 0xD3CD8088, 0x06220938
.long 0xD3CD808C, 0x06320D38
.long 0xD3CD8090, 0x06421138
.long 0xBF8C0F7C
.long 0x7EF4715E
.long 0xD3CD8094, 0x06521538
.long 0x7F00ACF9, 0x0004067A
.long 0x7EF814F9, 0x00061480
.long 0x7EF814F9, 0x00061581
.long 0xD3CD8098, 0x06621938
.long 0x7F00ACF9, 0x0005067A
.long 0x7EFA14F9, 0x00061480
.long 0x7EFA14F9, 0x00061581
.long 0xD3CD809C, 0x06721D38
.long 0x7F00ACF9, 0x0004067B
.long 0x7EFC14F9, 0x00061480
.long 0x7EFC14F9, 0x00061581
.long 0xD3CD80A0, 0x0682013A
.long 0x7F00ACF9, 0x0005067B
.long 0x7EFE14F9, 0x00061480
.long 0x7EFE14F9, 0x00061581
.long 0xD9BE0400, 0x00007C58
.long 0xD3CD80A4, 0x0692053A
.long 0xD3CD80A8, 0x06A2093A
.long 0xD3CD80AC, 0x06B20D3A
	;; [unrolled: 23-line block ×3, first 2 shown]
.long 0xD3CD80D0, 0x0742113C
.long 0xD3CD80D4, 0x0752153C
.long 0xBF8C0F7A
.long 0x7EF47162
.long 0xD3CD80D8, 0x0762193C
.long 0x7F00ACF9, 0x0004067A
	;; [unrolled: 1-line block ×21, first 2 shown]
.long 0xBF8C0F79
.long 0xD89A0000, 0x00006459
.long 0xD3CD80F8, 0x07E2193E
.long 0xD3CD80FC, 0x07F21D3E
.long 0xD3CD0084, 0x06120140
.long 0xD3CD0088, 0x06220540
.long 0xD3CD008C, 0x06320940
.long 0xD3CD0090, 0x06420D40
.long 0xD3CD0094, 0x06521140
.long 0xD3CD0098, 0x06621540
.long 0xBF8C0F78
.long 0xD89A0220, 0x00006659
.long 0xD3CD009C, 0x06721940
	;; [unrolled: 1-line block ×10, first 2 shown]
.long 0xBF8C0F77
.long 0xD89A0440, 0x00006859
.long 0xD3CD00C0, 0x07021D42
.long 0xBF8CC77F
.long 0xD1ED0000, 0x00E2291C
.long 0xD1ED0001, 0x00E2492C
	;; [unrolled: 1-line block ×23, first 2 shown]
.long 0xBF8C0F76
.long 0xD89A0660, 0x00006A59
.long 0xD3CD801C, 0x04721D44
	;; [unrolled: 1-line block ×9, first 2 shown]
.long 0xBF8C0F75
.long 0xD89A0880, 0x00006C59
.long 0xD3CD803C, 0x04F21D46
	;; [unrolled: 1-line block ×10, first 2 shown]
.long 0xBF8C0F74
.long 0xD89A0AA0, 0x00006E59
.long 0xD3CD8060, 0x0582014A
.long 0xD3CD8064, 0x0592054A
.long 0xD3CD8068, 0x05A2094A
.long 0xD3CD806C, 0x05B20D4A
.long 0xD3CD8070, 0x05C2114A
.long 0xD3CD8074, 0x05D2154A
.long 0xD3CD8078, 0x05E2194A
.long 0xD3CD807C, 0x05F21D4A
.long 0xBF8C0F73
.long 0xD89A0CC0, 0x00007059
.long 0xD3CD8080, 0x0602014C
.long 0xD3CD8084, 0x0612054C
.long 0xD3CD8088, 0x0622094C
.long 0xD3CD808C, 0x06320D4C
.long 0xD3CD8090, 0x0642114C
.long 0xD3CD8094, 0x0652154C
.long 0xD3CD8098, 0x0662194C
.long 0xD3CD809C, 0x06721D4C
	;; [unrolled: 10-line block ×3, first 2 shown]
.long 0xD3CD80C0, 0x07020150
.long 0xBF8C0F71
.long 0xD89A1100, 0x00007459
.long 0xD3CD80C4, 0x07120550
	;; [unrolled: 1-line block ×9, first 2 shown]
.long 0xBF8C0F70
.long 0xD89A1320, 0x00007659
.long 0xD3CD80E4, 0x07920552
	;; [unrolled: 1-line block ×4, first 2 shown]
.long 0xBF8CC07F
.long 0xBF8A0000
.long 0xD3CD80F0, 0x07C21152
.long 0xD9FE0000, 0x10000078
	;; [unrolled: 1-line block ×34, first 2 shown]
.long 0xBF8CC07F
.long 0xD1ED0000, 0x00E22118
.long 0xD1ED0001, 0x00E24128
.long 0xD1ED0002, 0x00E62118
.long 0xD1ED0003, 0x00E64128
.long 0xD1ED0004, 0x00E22319
.long 0xD3CD8000, 0x04020130
.long 0xD9FE2000, 0x14000078
.long 0xD1ED0005, 0x00E24329
.long 0xD1ED0006, 0x00E62319
.long 0xD1ED0007, 0x00E64329
.long 0xD1ED0008, 0x00E2251A
.long 0xD1ED0009, 0x00E2452A
.long 0xD3CD8004, 0x04120530
.long 0xD9FE2200, 0x1C000078
.long 0xD1ED000A, 0x00E6251A
.long 0xD1ED000B, 0x00E6452A
.long 0xD1ED000C, 0x00E2271B
.long 0xD1ED000D, 0x00E2472B
.long 0xD1ED000E, 0x00E6271B
.long 0xD3CD8008, 0x04220930
.long 0xD9FE2400, 0x24000078
.long 0xD1ED000F, 0x00E6472B
.long 0xD3CD800C, 0x04320D30
.long 0xD9FE2600, 0x2C000078
.long 0xD3CD8010, 0x04421130
.long 0xD8EC0020, 0x44000079
.long 0xD3CD8014, 0x04521530
.long 0xD8EC08A0, 0x46000079
.long 0xD3CD8018, 0x04621930
.long 0xD8EC1120, 0x48000079
.long 0xD3CD801C, 0x04721D30
.long 0xD8EC19A0, 0x4A000079
.long 0xD3CD8020, 0x04820132
.long 0xD8EC2220, 0x4C000079
.long 0xD3CD8024, 0x04920532
.long 0xD8EC2AA0, 0x4E000079
.long 0xD3CD8028, 0x04A20932
.long 0xD8EC3320, 0x50000079
.long 0xD3CD802C, 0x04B20D32
.long 0xD8EC3BA0, 0x52000079
.long 0xD3CD8030, 0x04C21132
.long 0xD8EC4420, 0x54000079
.long 0xD3CD8034, 0x04D21532
.long 0xD8EC4CA0, 0x56000079
.long 0xD3CD8038, 0x04E21932
.long 0xD3CD803C, 0x04F21D32
.long 0xD3CD8040, 0x05020134
.long 0xD3CD8044, 0x05120534
.long 0xD3CD8048, 0x05220934
.long 0xD3CD804C, 0x05320D34
.long 0xD3CD8050, 0x05421134
.long 0xD3CD8054, 0x05521534
.long 0xD3CD8058, 0x05621934
.long 0xD3CD805C, 0x05721D34
.long 0xD3CD8060, 0x05820136
.long 0xD3CD8064, 0x05920536
.long 0xD3CD8068, 0x05A20936
.long 0xD3CD806C, 0x05B20D36
.long 0xD3CD8070, 0x05C21136
.long 0xD3CD8074, 0x05D21536
.long 0xD3CD8078, 0x05E21936
.long 0xD3CD807C, 0x05F21D36
.long 0xD3CD8080, 0x06020138
.long 0xD3CD8084, 0x06120538
.long 0xD3CD8088, 0x06220938
.long 0xD3CD808C, 0x06320D38
.long 0xD3CD8090, 0x06421138
.long 0xD3CD8094, 0x06521538
.long 0xD3CD8098, 0x06621938
.long 0xD3CD809C, 0x06721D38
.long 0xD3CD80A0, 0x0682013A
.long 0xD3CD80A4, 0x0692053A
.long 0xD3CD80A8, 0x06A2093A
.long 0xD3CD80AC, 0x06B20D3A
.long 0xD3CD80B0, 0x06C2113A
.long 0xD3CD80B4, 0x06D2153A
.long 0xD3CD80B8, 0x06E2193A
.long 0xD3CD80BC, 0x06F21D3A
.long 0xD3CD80C0, 0x0702013C
.long 0xD3CD80C4, 0x0712053C
.long 0xD3CD80C8, 0x0722093C
.long 0xD3CD80CC, 0x07320D3C
.long 0xD3CD80D0, 0x0742113C
.long 0xD3CD80D4, 0x0752153C
.long 0xD3CD80D8, 0x0762193C
.long 0xD3CD80DC, 0x07721D3C
.long 0xD3CD80E0, 0x0782013E
.long 0xD3CD80E4, 0x0792053E
.long 0xD3CD80E8, 0x07A2093E
.long 0xD3CD80EC, 0x07B20D3E
.long 0xD3CD80F0, 0x07C2113E
.long 0xD3CD80F4, 0x07D2153E
.long 0xD3CD80F8, 0x07E2193E
.long 0xD3CD80FC, 0x07F21D3E
.long 0xD3CD0084, 0x06120140
.long 0xD3CD0088, 0x06220540
.long 0xD3CD008C, 0x06320940
.long 0xD3CD0090, 0x06420D40
.long 0xD3CD0094, 0x06521140
.long 0xD3CD0098, 0x06621540
.long 0xD3CD009C, 0x06721940
.long 0xD3CD00A0, 0x06821D40
.long 0xD3CD00A4, 0x06920142
.long 0xD3CD00A8, 0x06A20542
.long 0xD3CD00AC, 0x06B20942
.long 0xD3CD00B0, 0x06C20D42
.long 0xD3CD00B4, 0x06D21142
.long 0xD3CD00B8, 0x06E21542
.long 0xBF8CC07F
.long 0xBF8A0000
.long 0xD3CD00BC, 0x06F21942
.long 0xD3CD00C0, 0x07021D42
.long 0xBF8CC07F
.long 0xD1ED0000, 0x00E2291C
.long 0xD1ED0001, 0x00E2492C
	;; [unrolled: 1-line block ×96, first 2 shown]
.long 0x8605179F
.long 0xBF068005
.long 0xBE880080
.long 0xBF850322
.long 0xE0801000, 0x800B5C5A
.long 0xE0801001, 0x800B005A
.long 0xE0841002, 0x800B015A
.long 0xE0841003, 0x800B025A
.long 0xE0801004, 0x800B5D5A
.long 0xE0801005, 0x800B045A
.long 0xE0841006, 0x800B055A
.long 0xE0841007, 0x800B065A
.long 0xBF8C0F76
.long 0x24000088
.long 0x28B8015C
.long 0xBF8C0F75
.long 0x28B8035C
.long 0xBF8C0F74
.long 0x24040488
.long 0x28B8055C
.long 0xBF8C0F72
.long 0x24080888
.long 0x28BA095D
.long 0xBF8C0F71
.long 0x28BA0B5D
.long 0xBF8C0F70
.long 0x240C0C88
.long 0x28BA0D5D
.long 0xE0801000, 0x3A0B5E5A
.long 0xE0801001, 0x3A0B005A
.long 0xE0841002, 0x3A0B015A
.long 0xE0841003, 0x3A0B025A
.long 0xE0801004, 0x3A0B5F5A
.long 0xE0801005, 0x3A0B045A
.long 0xE0841006, 0x3A0B055A
.long 0xE0841007, 0x3A0B065A
.long 0xBF8C0F76
.long 0x24000088
.long 0x28BC015E
.long 0xBF8C0F75
.long 0x28BC035E
.long 0xBF8C0F74
.long 0x24040488
.long 0x28BC055E
.long 0xBF8C0F72
.long 0x24080888
.long 0x28BE095F
.long 0xBF8C0F71
	;; [unrolled: 24-line block ×4, first 2 shown]
.long 0x28C60B63
.long 0xBF8C0F70
	;; [unrolled: 1-line block ×4, first 2 shown]
.long 0xE0901000, 0x800C645B
.long 0xE0941002, 0x800C005B
.long 0xBF8C0F70
.long 0x28C80164
.long 0xE0901004, 0x800C655B
.long 0xE0941006, 0x800C005B
.long 0xBF8C0F70
.long 0x28CA0165
	;; [unrolled: 4-line block ×20, first 2 shown]
.long 0xBF8C0F70
.long 0xBF8A0000
	;; [unrolled: 1-line block ×3, first 2 shown]
.long 0x7F00ACF9, 0x0004067A
.long 0x7EF814F9, 0x00061480
.long 0x7EF814F9, 0x00061581
.long 0x7F00ACF9, 0x0005067A
.long 0x7EFA14F9, 0x00061480
.long 0x7EFA14F9, 0x00061581
.long 0x7F00ACF9, 0x0004067B
.long 0x7EFC14F9, 0x00061480
.long 0x7EFC14F9, 0x00061581
.long 0x7F00ACF9, 0x0005067B
.long 0x7EFE14F9, 0x00061480
.long 0x7EFE14F9, 0x00061581
.long 0xD9BE0000, 0x00007C58
.long 0x7EF4715E
.long 0x7F00ACF9, 0x0004067A
.long 0x7EF814F9, 0x00061480
.long 0x7EF814F9, 0x00061581
.long 0x7F00ACF9, 0x0005067A
.long 0x7EFA14F9, 0x00061480
.long 0x7EFA14F9, 0x00061581
.long 0x7F00ACF9, 0x0004067B
.long 0x7EFC14F9, 0x00061480
.long 0x7EFC14F9, 0x00061581
.long 0x7F00ACF9, 0x0005067B
.long 0x7EFE14F9, 0x00061480
.long 0x7EFE14F9, 0x00061581
.long 0xD9BE0400, 0x00007C58
.long 0x7EF47160
.long 0x7F00ACF9, 0x0004067A
.long 0x7EF814F9, 0x00061480
.long 0x7EF814F9, 0x00061581
.long 0x7F00ACF9, 0x0005067A
.long 0x7EFA14F9, 0x00061480
.long 0x7EFA14F9, 0x00061581
.long 0x7F00ACF9, 0x0004067B
.long 0x7EFC14F9, 0x00061480
.long 0x7EFC14F9, 0x00061581
.long 0x7F00ACF9, 0x0005067B
.long 0x7EFE14F9, 0x00061480
.long 0x7EFE14F9, 0x00061581
.long 0xD9BE0800, 0x00007C58
.long 0x7EF47162
.long 0x7F00ACF9, 0x0004067A
.long 0x7EF814F9, 0x00061480
	;; [unrolled: 1-line block ×23, first 2 shown]
.long 0xBF8CC07F
.long 0xBF8A0000
.long 0xD9FE0000, 0x10000078
.long 0xD9FE0200, 0x18000078
	;; [unrolled: 1-line block ×15, first 2 shown]
.long 0x32F0F046
.long 0xBEC600A0
	;; [unrolled: 1-line block ×4, first 2 shown]
.long 0xD1ED0000, 0x00E22118
.long 0xD1ED0001, 0x00E24128
	;; [unrolled: 1-line block ×16, first 2 shown]
.long 0x26B104BF
.long 0x20B0B084
	;; [unrolled: 1-line block ×3, first 2 shown]
.long 0xD0C60046, 0x00000B58
.long 0xD1000000, 0x01190100
	;; [unrolled: 1-line block ×37, first 2 shown]
.long 0x6AB0B005
.long 0xD0C10046, 0x00010958
.long 0x86488305
.long 0x80C84884
	;; [unrolled: 1-line block ×3, first 2 shown]
.long 0xD28F005A, 0x00020048
.long 0xD1000000, 0x011AB500
	;; [unrolled: 1-line block ×54, first 2 shown]
.long 0xBF800001
.long 0xD3CD8000, 0x04020130
.long 0xD3CD8004, 0x04120530
	;; [unrolled: 1-line block ×80, first 2 shown]
.long 0x81859005
.long 0x80089008
	;; [unrolled: 1-line block ×6, first 2 shown]
.long 0xC00E0B00, 0x00000058
.long 0xC00A0D00, 0x00000078
	;; [unrolled: 1-line block ×3, first 2 shown]
.long 0xBF82000A
.long 0xC00A0B03, 0x00000070
.long 0xC00A0C03, 0x00000090
	;; [unrolled: 1-line block ×5, first 2 shown]
.long 0x20090486
.long 0x200A0881
.long 0xD2850005, 0x00020A90
.long 0x260304BF
.long 0x20020284
	;; [unrolled: 1-line block ×3, first 2 shown]
.long 0xD1FE0001, 0x02020305
.long 0xD2850002, 0x00004501
	;; [unrolled: 1-line block ×3, first 2 shown]
.long 0x26000881
.long 0xD2850000, 0x00020090
.long 0x260B048F
.long 0xD1FE0000, 0x020E0105
.long 0x922B02FF, 0x00000100
.long 0x6800002B
.long 0x922B03FF, 0x00000180
.long 0x6802022B
.long 0xBF8CC07F
	;; [unrolled: 1-line block ×5, first 2 shown]
.long 0xC0020AD6, 0x00000000
.long 0xBEB900F2
.long 0xBF12802E
.long 0xBF850002
.long 0xC0020E57, 0x00000000
.long 0xBEBC0030
.long 0xBEBD0031
.long 0xBEBF00FF, 0x00020000
.long 0xBF128030
.long 0xBF840002
.long 0xBEBE0080
.long 0xBF820001
.long 0xBEBE0014
.long 0x923E3E84
.long 0x803A8104
.long 0x923A3A35
.long 0xBF06803A
.long 0x853A3A14
.long 0xBEC00032
.long 0xBEC10033
.long 0xBEC300FF, 0x00020000
.long 0xBF128032
.long 0xBF840002
	;; [unrolled: 1-line block ×8, first 2 shown]
.long 0x923A02FF, 0x00000100
.long 0x6811043A
.long 0x923A0435
	;; [unrolled: 1-line block ×4, first 2 shown]
.long 0xE0501000, 0x80100408
.long 0x24110482
.long 0xBF8C0F70
.long 0xBF8A0000
.long 0xD81A0000, 0x00000408
.long 0xBF820012
.long 0xB4B40004
.long 0xBF850010
.long 0x92424282
.long 0x923A02FF, 0x00000100
.long 0x6811043A
	;; [unrolled: 5-line block ×4, first 2 shown]
.long 0x7E080228
.long 0xBF8CC07F
.long 0xD1050004, 0x00005704
.long 0xD1050004, 0x00007304
.long 0xBF800000
.long 0x7E500504
	;; [unrolled: 1-line block ×19, first 2 shown]
.long 0x812B84FF, 0x00010524
.long 0x803A2B3A
.long 0x823B803B
.long 0xBF820030
.long 0xBEBA1C00
.long 0x812B84FF, 0x00010510
.long 0x803A2B3A
.long 0x823B803B
.long 0xBF82002A
.long 0xBEBA1C00
	;; [unrolled: 5-line block ×9, first 2 shown]
.long 0xBF841C9F
.long 0x864614FF, 0x000000FF
.long 0x804709C1
.long 0xBF094702
	;; [unrolled: 1-line block ×6, first 2 shown]
.long 0x924815FF, 0x00000199
.long 0x8EC89048
.long 0x9247FF15, 0x0000999A
.long 0x80484847
.long 0x82498049
	;; [unrolled: 1-line block ×4, first 2 shown]
.long 0x9248FF47, 0x00000140
.long 0x80C64815
.long 0x80470AC1
	;; [unrolled: 1-line block ×6, first 2 shown]
.long 0x924602FF, 0x00000100
.long 0xD135000F, 0x00008D00
.long 0x241E1E82
.long 0xBF8CC07F
.long 0xBF8A0000
.long 0xD9FE0000, 0x1800000F
.long 0xD9FE0010, 0x1C00000F
.long 0x24200082
.long 0xE05C1000, 0x800F2010
.long 0xE05C1010, 0x800F2410
	;; [unrolled: 1-line block ×51, first 2 shown]
.long 0xBF800001
.long 0x0A505028
	;; [unrolled: 1-line block ×50, first 2 shown]
.long 0xD0CC0030, 0x0001003E
.long 0xD1000020, 0x00C240F2
	;; [unrolled: 1-line block ×20, first 2 shown]
.long 0xBEC41E3A
.long 0x7E500304
.long 0x7E520305
.long 0x7E540306
.long 0x7E560307
.long 0x7E580308
.long 0x7E5A0309
.long 0x7E5C030A
.long 0x7E5E030B
.long 0xE07C1000, 0x8003280D
.long 0xE07C1010, 0x80032C0D
.long 0xD0CC0030, 0x0001003E
.long 0xD1000020, 0x00C240F2
.long 0xD1000021, 0x00C242F2
.long 0xD3B14030, 0x18026120
.long 0xD0CC0030, 0x0001003E
.long 0xD1000022, 0x00C244F2
.long 0xD1000023, 0x00C246F2
.long 0xD3B14032, 0x18026522
.long 0xD0CC0030, 0x0001003E
.long 0xD1000024, 0x00C248F2
.long 0xD1000025, 0x00C24AF2
.long 0xD3B14034, 0x18026924
.long 0xD0CC0030, 0x0001003E
.long 0xD1000026, 0x00C24CF2
.long 0xD1000027, 0x00C24EF2
.long 0xD3B14036, 0x18026D26
.long 0xD3B24004, 0x18026118
.long 0xD3B24006, 0x1802651A
.long 0xD3B24008, 0x1802691C
.long 0xD3B2400A, 0x18026D1E
.long 0xBEC41E3A
.long 0x7E600304
.long 0x7E620305
.long 0x7E640306
.long 0x7E660307
.long 0x7E680308
.long 0x7E6A0309
.long 0x7E6C030A
.long 0x7E6E030B
.long 0x8E468220
.long 0x800C460C
.long 0x820D800D
.long 0xE07C1000, 0x8003300D
.long 0xE07C1010, 0x8003340D
.long 0xD0CC0030, 0x0001003E
.long 0xD1000020, 0x00C240F2
.long 0xD1000021, 0x00C242F2
.long 0xD3B14038, 0x18027120
.long 0xD0CC0030, 0x0001003E
.long 0xD1000022, 0x00C244F2
.long 0xD1000023, 0x00C246F2
.long 0xD3B1403A, 0x18027522
.long 0xD0CC0030, 0x0001003E
.long 0xD1000024, 0x00C248F2
.long 0xD1000025, 0x00C24AF2
.long 0xD3B1403C, 0x18027924
.long 0xD0CC0030, 0x0001003E
.long 0xD1000026, 0x00C24CF2
.long 0xD1000027, 0x00C24EF2
.long 0xD3B1403E, 0x18027D26
.long 0xD3B24004, 0x18027118
.long 0xD3B24006, 0x1802751A
.long 0xD3B24008, 0x1802791C
.long 0xD3B2400A, 0x18027D1E
.long 0xBEC41E3A
.long 0x7E700304
.long 0x7E720305
	;; [unrolled: 34-line block ×4, first 2 shown]
.long 0x7E940306
.long 0x7E960307
	;; [unrolled: 1-line block ×6, first 2 shown]
.long 0x9246FF20, 0x00000074
.long 0x800C460C
.long 0x820D800D
.long 0xE07C1000, 0x8003480D
.long 0xE07C1010, 0x80034C0D
	;; [unrolled: 1-line block ×22, first 2 shown]
.long 0xBEC41E3A
.long 0x7EA00304
	;; [unrolled: 1-line block ×12, first 2 shown]
.long 0xE07C1000, 0x8003500D
.long 0xE07C1010, 0x8003540D
.long 0xBF800000
.long 0x924602FF, 0x00000100
.long 0xD135000F, 0x00008D00
.long 0x241E1E82
.long 0xD9FE0000, 0x1800000F
.long 0xD9FE0010, 0x1C00000F
.long 0xE05C1000, 0x800F2010
.long 0xE05C1010, 0x800F2410
.long 0xD3D84028, 0x18000122
.long 0xD3D84029, 0x18000126
.long 0xD3D8402A, 0x1800012A
.long 0xD3D8402B, 0x1800012E
.long 0xD3D8402C, 0x18000132
.long 0xD3D8402D, 0x18000136
.long 0xD3D8402E, 0x1800013A
.long 0xD3D8402F, 0x1800013E
.long 0xD3D84030, 0x18000123
.long 0xD3D84031, 0x18000127
.long 0xD3D84032, 0x1800012B
.long 0xD3D84033, 0x1800012F
.long 0xD3D84034, 0x18000133
.long 0xD3D84035, 0x18000137
.long 0xD3D84036, 0x1800013B
.long 0xD3D84037, 0x1800013F
.long 0xD3D84038, 0x18000140
.long 0xD3D84039, 0x18000144
.long 0xD3D8403A, 0x18000148
.long 0xD3D8403B, 0x1800014C
.long 0xD3D8403C, 0x18000150
.long 0xD3D8403D, 0x18000154
.long 0xD3D8403E, 0x18000158
.long 0xD3D8403F, 0x1800015C
.long 0xD3D84040, 0x18000141
.long 0xD3D84041, 0x18000145
.long 0xD3D84042, 0x18000149
.long 0xD3D84043, 0x1800014D
.long 0xD3D84044, 0x18000151
.long 0xD3D84045, 0x18000155
.long 0xD3D84046, 0x18000159
.long 0xD3D84047, 0x1800015D
.long 0xD3D84048, 0x18000142
.long 0xD3D84049, 0x18000146
.long 0xD3D8404A, 0x1800014A
.long 0xD3D8404B, 0x1800014E
.long 0xD3D8404C, 0x18000152
.long 0xD3D8404D, 0x18000156
.long 0xD3D8404E, 0x1800015A
.long 0xD3D8404F, 0x1800015E
.long 0xD3D84050, 0x18000143
.long 0xD3D84051, 0x18000147
.long 0xD3D84052, 0x1800014B
.long 0xD3D84053, 0x1800014F
.long 0xD3D84054, 0x18000153
.long 0xD3D84055, 0x18000157
.long 0xD3D84056, 0x1800015B
.long 0xD3D84057, 0x1800015F
.long 0xBF800001
.long 0x0A505028
.long 0x0A525228
.long 0x0A545428
.long 0x0A565628
.long 0x0A585828
.long 0x0A5A5A28
.long 0x0A5C5C28
.long 0x0A5E5E28
.long 0x0A606028
.long 0x0A626228
.long 0x0A646428
.long 0x0A666628
.long 0x0A686828
.long 0x0A6A6A28
.long 0x0A6C6C28
.long 0x0A6E6E28
.long 0x0A707028
.long 0x0A727228
.long 0x0A747428
.long 0x0A767628
.long 0x0A787828
.long 0x0A7A7A28
.long 0x0A7C7C28
.long 0x0A7E7E28
.long 0x0A808028
.long 0x0A828228
.long 0x0A848428
.long 0x0A868628
.long 0x0A888828
.long 0x0A8A8A28
.long 0x0A8C8C28
.long 0x0A8E8E28
.long 0x0A909028
.long 0x0A929228
.long 0x0A949428
.long 0x0A969628
.long 0x0A989828
.long 0x0A9A9A28
.long 0x0A9C9C28
.long 0x0A9E9E28
.long 0x0AA0A028
.long 0x0AA2A228
.long 0x0AA4A428
.long 0x0AA6A628
.long 0x0AA8A828
.long 0x0AAAAA28
.long 0x0AACAC28
.long 0x0AAEAE28
.long 0xBF8C0000
.long 0xD0CC0030, 0x0001003E
.long 0xD1000020, 0x00C240F2
	;; [unrolled: 1-line block ×20, first 2 shown]
.long 0xBEC41E3A
.long 0x7E500304
	;; [unrolled: 1-line block ×12, first 2 shown]
.long 0xE07C1000, 0x8003280D
.long 0xE07C1010, 0x80032C0D
	;; [unrolled: 1-line block ×22, first 2 shown]
.long 0xBEC41E3A
.long 0x7E600304
	;; [unrolled: 1-line block ×12, first 2 shown]
.long 0xE07C1000, 0x8003300D
.long 0xE07C1010, 0x8003340D
	;; [unrolled: 1-line block ×22, first 2 shown]
.long 0xBEC41E3A
.long 0x7E700304
	;; [unrolled: 1-line block ×9, first 2 shown]
.long 0x9246FF20, 0x00000074
.long 0x800C460C
.long 0x820D800D
.long 0xE07C1000, 0x8003380D
.long 0xE07C1010, 0x80033C0D
.long 0xD0CC0030, 0x0001003E
.long 0xD1000020, 0x00C240F2
.long 0xD1000021, 0x00C242F2
.long 0xD3B14040, 0x18028120
.long 0xD0CC0030, 0x0001003E
.long 0xD1000022, 0x00C244F2
.long 0xD1000023, 0x00C246F2
.long 0xD3B14042, 0x18028522
.long 0xD0CC0030, 0x0001003E
.long 0xD1000024, 0x00C248F2
.long 0xD1000025, 0x00C24AF2
.long 0xD3B14044, 0x18028924
.long 0xD0CC0030, 0x0001003E
.long 0xD1000026, 0x00C24CF2
.long 0xD1000027, 0x00C24EF2
.long 0xD3B14046, 0x18028D26
.long 0xD3B24004, 0x18028118
.long 0xD3B24006, 0x1802851A
.long 0xD3B24008, 0x1802891C
.long 0xD3B2400A, 0x18028D1E
.long 0xBEC41E3A
.long 0x7E800304
.long 0x7E820305
.long 0x7E840306
.long 0x7E860307
.long 0x7E880308
.long 0x7E8A0309
.long 0x7E8C030A
.long 0x7E8E030B
.long 0x8E468220
.long 0x800C460C
.long 0x820D800D
.long 0xE07C1000, 0x8003400D
.long 0xE07C1010, 0x8003440D
.long 0xD0CC0030, 0x0001003E
.long 0xD1000020, 0x00C240F2
.long 0xD1000021, 0x00C242F2
.long 0xD3B14048, 0x18029120
.long 0xD0CC0030, 0x0001003E
.long 0xD1000022, 0x00C244F2
.long 0xD1000023, 0x00C246F2
.long 0xD3B1404A, 0x18029522
.long 0xD0CC0030, 0x0001003E
.long 0xD1000024, 0x00C248F2
.long 0xD1000025, 0x00C24AF2
.long 0xD3B1404C, 0x18029924
.long 0xD0CC0030, 0x0001003E
.long 0xD1000026, 0x00C24CF2
.long 0xD1000027, 0x00C24EF2
.long 0xD3B1404E, 0x18029D26
.long 0xD3B24004, 0x18029118
.long 0xD3B24006, 0x1802951A
.long 0xD3B24008, 0x1802991C
.long 0xD3B2400A, 0x18029D1E
.long 0xBEC41E3A
.long 0x7E900304
.long 0x7E920305
.long 0x7E940306
.long 0x7E960307
.long 0x7E980308
.long 0x7E9A0309
.long 0x7E9C030A
.long 0x7E9E030B
.long 0x8E468220
	;; [unrolled: 34-line block ×3, first 2 shown]
.long 0x800C460C
.long 0x820D800D
.long 0xE07C1000, 0x8003500D
.long 0xE07C1010, 0x8003540D
.long 0xBF800000
.long 0x924602FF, 0x00000100
.long 0xD135000F, 0x00008D00
	;; [unrolled: 3-line block ×3, first 2 shown]
.long 0xE05C1000, 0x800F2010
.long 0xE05C1010, 0x800F2410
	;; [unrolled: 1-line block ×50, first 2 shown]
.long 0xBF800001
.long 0x0A505028
	;; [unrolled: 1-line block ×50, first 2 shown]
.long 0xD0CC0030, 0x0001003E
.long 0xD1000020, 0x00C240F2
	;; [unrolled: 1-line block ×20, first 2 shown]
.long 0xBEC41E3A
.long 0x7E500304
	;; [unrolled: 1-line block ×9, first 2 shown]
.long 0x9246FF20, 0x00000074
.long 0x800C460C
.long 0x820D800D
.long 0xE07C1000, 0x8003280D
.long 0xE07C1010, 0x80032C0D
.long 0xD0CC0030, 0x0001003E
.long 0xD1000020, 0x00C240F2
.long 0xD1000021, 0x00C242F2
.long 0xD3B14030, 0x18026120
.long 0xD0CC0030, 0x0001003E
.long 0xD1000022, 0x00C244F2
.long 0xD1000023, 0x00C246F2
.long 0xD3B14032, 0x18026522
.long 0xD0CC0030, 0x0001003E
.long 0xD1000024, 0x00C248F2
.long 0xD1000025, 0x00C24AF2
.long 0xD3B14034, 0x18026924
.long 0xD0CC0030, 0x0001003E
.long 0xD1000026, 0x00C24CF2
.long 0xD1000027, 0x00C24EF2
.long 0xD3B14036, 0x18026D26
.long 0xD3B24004, 0x18026118
.long 0xD3B24006, 0x1802651A
.long 0xD3B24008, 0x1802691C
.long 0xD3B2400A, 0x18026D1E
.long 0xBEC41E3A
.long 0x7E600304
.long 0x7E620305
.long 0x7E640306
.long 0x7E660307
.long 0x7E680308
.long 0x7E6A0309
.long 0x7E6C030A
.long 0x7E6E030B
.long 0x8E468220
.long 0x800C460C
.long 0x820D800D
.long 0xE07C1000, 0x8003300D
.long 0xE07C1010, 0x8003340D
.long 0xD0CC0030, 0x0001003E
.long 0xD1000020, 0x00C240F2
.long 0xD1000021, 0x00C242F2
.long 0xD3B14038, 0x18027120
.long 0xD0CC0030, 0x0001003E
.long 0xD1000022, 0x00C244F2
.long 0xD1000023, 0x00C246F2
.long 0xD3B1403A, 0x18027522
.long 0xD0CC0030, 0x0001003E
.long 0xD1000024, 0x00C248F2
.long 0xD1000025, 0x00C24AF2
.long 0xD3B1403C, 0x18027924
.long 0xD0CC0030, 0x0001003E
.long 0xD1000026, 0x00C24CF2
.long 0xD1000027, 0x00C24EF2
.long 0xD3B1403E, 0x18027D26
.long 0xD3B24004, 0x18027118
.long 0xD3B24006, 0x1802751A
.long 0xD3B24008, 0x1802791C
.long 0xD3B2400A, 0x18027D1E
.long 0xBEC41E3A
.long 0x7E700304
.long 0x7E720305
.long 0x7E740306
.long 0x7E760307
.long 0x7E780308
.long 0x7E7A0309
.long 0x7E7C030A
.long 0x7E7E030B
.long 0x8E468220
	;; [unrolled: 34-line block ×3, first 2 shown]
.long 0x800C460C
.long 0x820D800D
.long 0xE07C1000, 0x8003400D
.long 0xE07C1010, 0x8003440D
	;; [unrolled: 1-line block ×22, first 2 shown]
.long 0xBEC41E3A
.long 0x7E900304
	;; [unrolled: 1-line block ×9, first 2 shown]
.long 0x9246FF20, 0x00000074
.long 0x800C460C
.long 0x820D800D
.long 0xE07C1000, 0x8003480D
.long 0xE07C1010, 0x80034C0D
	;; [unrolled: 1-line block ×22, first 2 shown]
.long 0xBEC41E3A
.long 0x7EA00304
	;; [unrolled: 1-line block ×12, first 2 shown]
.long 0xE07C1000, 0x8003500D
.long 0xE07C1010, 0x8003540D
.long 0xBF800000
.long 0x924602FF, 0x00000100
.long 0xD135000F, 0x00008D00
.long 0x241E1E82
.long 0xD9FE0000, 0x1800000F
.long 0xD9FE0010, 0x1C00000F
	;; [unrolled: 1-line block ×52, first 2 shown]
.long 0xBF800001
.long 0x0A505028
	;; [unrolled: 1-line block ×50, first 2 shown]
.long 0xD0CC0030, 0x0001003E
.long 0xD1000020, 0x00C240F2
.long 0xD1000021, 0x00C242F2
.long 0xD3B14028, 0x18025120
.long 0xD0CC0030, 0x0001003E
.long 0xD1000022, 0x00C244F2
.long 0xD1000023, 0x00C246F2
.long 0xD3B1402A, 0x18025522
.long 0xD0CC0030, 0x0001003E
.long 0xD1000024, 0x00C248F2
.long 0xD1000025, 0x00C24AF2
.long 0xD3B1402C, 0x18025924
.long 0xD0CC0030, 0x0001003E
.long 0xD1000026, 0x00C24CF2
.long 0xD1000027, 0x00C24EF2
.long 0xD3B1402E, 0x18025D26
.long 0xD3B24004, 0x18025118
.long 0xD3B24006, 0x1802551A
.long 0xD3B24008, 0x1802591C
.long 0xD3B2400A, 0x18025D1E
.long 0xBEC41E3A
.long 0x7E500304
	;; [unrolled: 1-line block ×12, first 2 shown]
.long 0xE07C1000, 0x8003280D
.long 0xE07C1010, 0x80032C0D
.long 0xD0CC0030, 0x0001003E
.long 0xD1000020, 0x00C240F2
.long 0xD1000021, 0x00C242F2
.long 0xD3B14030, 0x18026120
.long 0xD0CC0030, 0x0001003E
.long 0xD1000022, 0x00C244F2
.long 0xD1000023, 0x00C246F2
.long 0xD3B14032, 0x18026522
.long 0xD0CC0030, 0x0001003E
.long 0xD1000024, 0x00C248F2
.long 0xD1000025, 0x00C24AF2
.long 0xD3B14034, 0x18026924
.long 0xD0CC0030, 0x0001003E
.long 0xD1000026, 0x00C24CF2
.long 0xD1000027, 0x00C24EF2
.long 0xD3B14036, 0x18026D26
.long 0xD3B24004, 0x18026118
.long 0xD3B24006, 0x1802651A
.long 0xD3B24008, 0x1802691C
.long 0xD3B2400A, 0x18026D1E
.long 0xBEC41E3A
.long 0x7E600304
	;; [unrolled: 1-line block ×12, first 2 shown]
.long 0xE07C1000, 0x8003300D
.long 0xE07C1010, 0x8003340D
.long 0xD0CC0030, 0x0001003E
.long 0xD1000020, 0x00C240F2
.long 0xD1000021, 0x00C242F2
.long 0xD3B14038, 0x18027120
.long 0xD0CC0030, 0x0001003E
.long 0xD1000022, 0x00C244F2
.long 0xD1000023, 0x00C246F2
.long 0xD3B1403A, 0x18027522
.long 0xD0CC0030, 0x0001003E
.long 0xD1000024, 0x00C248F2
.long 0xD1000025, 0x00C24AF2
.long 0xD3B1403C, 0x18027924
.long 0xD0CC0030, 0x0001003E
.long 0xD1000026, 0x00C24CF2
.long 0xD1000027, 0x00C24EF2
.long 0xD3B1403E, 0x18027D26
.long 0xD3B24004, 0x18027118
.long 0xD3B24006, 0x1802751A
.long 0xD3B24008, 0x1802791C
.long 0xD3B2400A, 0x18027D1E
.long 0xBEC41E3A
.long 0x7E700304
	;; [unrolled: 1-line block ×9, first 2 shown]
.long 0x9246FF20, 0x00000074
.long 0x800C460C
.long 0x820D800D
.long 0xE07C1000, 0x8003380D
.long 0xE07C1010, 0x80033C0D
.long 0xD0CC0030, 0x0001003E
.long 0xD1000020, 0x00C240F2
.long 0xD1000021, 0x00C242F2
.long 0xD3B14040, 0x18028120
.long 0xD0CC0030, 0x0001003E
.long 0xD1000022, 0x00C244F2
.long 0xD1000023, 0x00C246F2
.long 0xD3B14042, 0x18028522
.long 0xD0CC0030, 0x0001003E
.long 0xD1000024, 0x00C248F2
.long 0xD1000025, 0x00C24AF2
.long 0xD3B14044, 0x18028924
.long 0xD0CC0030, 0x0001003E
.long 0xD1000026, 0x00C24CF2
.long 0xD1000027, 0x00C24EF2
.long 0xD3B14046, 0x18028D26
.long 0xD3B24004, 0x18028118
.long 0xD3B24006, 0x1802851A
.long 0xD3B24008, 0x1802891C
.long 0xD3B2400A, 0x18028D1E
.long 0xBEC41E3A
.long 0x7E800304
.long 0x7E820305
.long 0x7E840306
.long 0x7E860307
.long 0x7E880308
.long 0x7E8A0309
.long 0x7E8C030A
.long 0x7E8E030B
.long 0x8E468220
.long 0x800C460C
.long 0x820D800D
.long 0xE07C1000, 0x8003400D
.long 0xE07C1010, 0x8003440D
.long 0xD0CC0030, 0x0001003E
.long 0xD1000020, 0x00C240F2
.long 0xD1000021, 0x00C242F2
.long 0xD3B14048, 0x18029120
.long 0xD0CC0030, 0x0001003E
.long 0xD1000022, 0x00C244F2
.long 0xD1000023, 0x00C246F2
.long 0xD3B1404A, 0x18029522
.long 0xD0CC0030, 0x0001003E
.long 0xD1000024, 0x00C248F2
.long 0xD1000025, 0x00C24AF2
.long 0xD3B1404C, 0x18029924
.long 0xD0CC0030, 0x0001003E
.long 0xD1000026, 0x00C24CF2
.long 0xD1000027, 0x00C24EF2
.long 0xD3B1404E, 0x18029D26
.long 0xD3B24004, 0x18029118
.long 0xD3B24006, 0x1802951A
.long 0xD3B24008, 0x1802991C
.long 0xD3B2400A, 0x18029D1E
.long 0xBEC41E3A
.long 0x7E900304
.long 0x7E920305
.long 0x7E940306
.long 0x7E960307
.long 0x7E980308
.long 0x7E9A0309
.long 0x7E9C030A
.long 0x7E9E030B
.long 0x8E468220
	;; [unrolled: 34-line block ×3, first 2 shown]
.long 0x800C460C
.long 0x820D800D
.long 0xE07C1000, 0x8003500D
.long 0xE07C1010, 0x8003540D
.long 0xBF800000
.long 0x924602FF, 0x00000100
.long 0xD135000F, 0x00008D00
.long 0x241E1E82
.long 0xD9FE0000, 0x1800000F
.long 0xD9FE0010, 0x1C00000F
.long 0xE05C1000, 0x800F2010
.long 0xE05C1010, 0x800F2410
	;; [unrolled: 1-line block ×50, first 2 shown]
.long 0xBF800001
.long 0x0A505028
.long 0x0A525228
.long 0x0A545428
.long 0x0A565628
.long 0x0A585828
.long 0x0A5A5A28
.long 0x0A5C5C28
.long 0x0A5E5E28
.long 0x0A606028
.long 0x0A626228
.long 0x0A646428
.long 0x0A666628
.long 0x0A686828
.long 0x0A6A6A28
.long 0x0A6C6C28
.long 0x0A6E6E28
.long 0x0A707028
.long 0x0A727228
.long 0x0A747428
.long 0x0A767628
.long 0x0A787828
.long 0x0A7A7A28
.long 0x0A7C7C28
.long 0x0A7E7E28
.long 0x0A808028
.long 0x0A828228
.long 0x0A848428
.long 0x0A868628
.long 0x0A888828
.long 0x0A8A8A28
.long 0x0A8C8C28
.long 0x0A8E8E28
.long 0x0A909028
.long 0x0A929228
.long 0x0A949428
.long 0x0A969628
.long 0x0A989828
.long 0x0A9A9A28
.long 0x0A9C9C28
.long 0x0A9E9E28
.long 0x0AA0A028
.long 0x0AA2A228
.long 0x0AA4A428
.long 0x0AA6A628
.long 0x0AA8A828
.long 0x0AAAAA28
.long 0x0AACAC28
.long 0x0AAEAE28
.long 0xBF8C0000
.long 0xD0CC0030, 0x0001003E
.long 0xD1000020, 0x00C240F2
	;; [unrolled: 1-line block ×20, first 2 shown]
.long 0xBEC41E3A
.long 0x7E500304
	;; [unrolled: 1-line block ×9, first 2 shown]
.long 0x9246FF20, 0x00000074
.long 0x800C460C
.long 0x820D800D
.long 0xE07C1000, 0x8003280D
.long 0xE07C1010, 0x80032C0D
.long 0xD0CC0030, 0x0001003E
.long 0xD1000020, 0x00C240F2
.long 0xD1000021, 0x00C242F2
.long 0xD3B14030, 0x18026120
.long 0xD0CC0030, 0x0001003E
.long 0xD1000022, 0x00C244F2
.long 0xD1000023, 0x00C246F2
.long 0xD3B14032, 0x18026522
.long 0xD0CC0030, 0x0001003E
.long 0xD1000024, 0x00C248F2
.long 0xD1000025, 0x00C24AF2
.long 0xD3B14034, 0x18026924
.long 0xD0CC0030, 0x0001003E
.long 0xD1000026, 0x00C24CF2
.long 0xD1000027, 0x00C24EF2
.long 0xD3B14036, 0x18026D26
.long 0xD3B24004, 0x18026118
.long 0xD3B24006, 0x1802651A
.long 0xD3B24008, 0x1802691C
.long 0xD3B2400A, 0x18026D1E
.long 0xBEC41E3A
.long 0x7E600304
.long 0x7E620305
.long 0x7E640306
.long 0x7E660307
.long 0x7E680308
.long 0x7E6A0309
.long 0x7E6C030A
.long 0x7E6E030B
.long 0x8E468220
.long 0x800C460C
.long 0x820D800D
.long 0xE07C1000, 0x8003300D
.long 0xE07C1010, 0x8003340D
.long 0xD0CC0030, 0x0001003E
.long 0xD1000020, 0x00C240F2
.long 0xD1000021, 0x00C242F2
.long 0xD3B14038, 0x18027120
.long 0xD0CC0030, 0x0001003E
.long 0xD1000022, 0x00C244F2
.long 0xD1000023, 0x00C246F2
.long 0xD3B1403A, 0x18027522
.long 0xD0CC0030, 0x0001003E
.long 0xD1000024, 0x00C248F2
.long 0xD1000025, 0x00C24AF2
.long 0xD3B1403C, 0x18027924
.long 0xD0CC0030, 0x0001003E
.long 0xD1000026, 0x00C24CF2
.long 0xD1000027, 0x00C24EF2
.long 0xD3B1403E, 0x18027D26
.long 0xD3B24004, 0x18027118
.long 0xD3B24006, 0x1802751A
.long 0xD3B24008, 0x1802791C
.long 0xD3B2400A, 0x18027D1E
.long 0xBEC41E3A
.long 0x7E700304
.long 0x7E720305
.long 0x7E740306
.long 0x7E760307
.long 0x7E780308
.long 0x7E7A0309
.long 0x7E7C030A
.long 0x7E7E030B
.long 0x8E468220
	;; [unrolled: 34-line block ×3, first 2 shown]
.long 0x800C460C
.long 0x820D800D
.long 0xE07C1000, 0x8003400D
.long 0xE07C1010, 0x8003440D
	;; [unrolled: 1-line block ×22, first 2 shown]
.long 0xBEC41E3A
.long 0x7E900304
	;; [unrolled: 1-line block ×9, first 2 shown]
.long 0x9246FF20, 0x00000074
.long 0x800C460C
.long 0x820D800D
.long 0xE07C1000, 0x8003480D
.long 0xE07C1010, 0x80034C0D
	;; [unrolled: 1-line block ×22, first 2 shown]
.long 0xBEC41E3A
.long 0x7EA00304
	;; [unrolled: 1-line block ×12, first 2 shown]
.long 0xE07C1000, 0x8003500D
.long 0xE07C1010, 0x8003540D
.long 0xBF800000
.long 0x924602FF, 0x00000100
.long 0xD135000F, 0x00008D00
.long 0x241E1E82
.long 0xD9FE0000, 0x1800000F
.long 0xD9FE0010, 0x1C00000F
	;; [unrolled: 1-line block ×20, first 2 shown]
.long 0x7E700384
.long 0x7E720388
	;; [unrolled: 1-line block ×82, first 2 shown]
.long 0xD0CC0030, 0x0001003E
.long 0xD1000020, 0x00C240F2
	;; [unrolled: 1-line block ×20, first 2 shown]
.long 0xBEC41E3A
.long 0x7E500304
	;; [unrolled: 1-line block ×12, first 2 shown]
.long 0xE07C1000, 0x8003280D
.long 0xE07C1010, 0x80032C0D
	;; [unrolled: 1-line block ×22, first 2 shown]
.long 0xBEC41E3A
.long 0x7E600304
	;; [unrolled: 1-line block ×12, first 2 shown]
.long 0xE07C1000, 0x8003300D
.long 0xE07C1010, 0x8003340D
	;; [unrolled: 1-line block ×22, first 2 shown]
.long 0xBEC41E3A
.long 0x7E700304
	;; [unrolled: 1-line block ×9, first 2 shown]
.long 0x9246FF20, 0x00000074
.long 0x800C460C
.long 0x820D800D
.long 0xE07C1000, 0x8003380D
.long 0xE07C1010, 0x80033C0D
.long 0xD0CC0030, 0x0001003E
.long 0xD1000020, 0x00C240F2
.long 0xD1000021, 0x00C242F2
.long 0xD3B14040, 0x18028120
.long 0xD0CC0030, 0x0001003E
.long 0xD1000022, 0x00C244F2
.long 0xD1000023, 0x00C246F2
.long 0xD3B14042, 0x18028522
.long 0xD0CC0030, 0x0001003E
.long 0xD1000024, 0x00C248F2
.long 0xD1000025, 0x00C24AF2
.long 0xD3B14044, 0x18028924
.long 0xD0CC0030, 0x0001003E
.long 0xD1000026, 0x00C24CF2
.long 0xD1000027, 0x00C24EF2
.long 0xD3B14046, 0x18028D26
.long 0xD3B24004, 0x18028118
.long 0xD3B24006, 0x1802851A
.long 0xD3B24008, 0x1802891C
.long 0xD3B2400A, 0x18028D1E
.long 0xBEC41E3A
.long 0x7E800304
.long 0x7E820305
.long 0x7E840306
.long 0x7E860307
.long 0x7E880308
.long 0x7E8A0309
.long 0x7E8C030A
.long 0x7E8E030B
.long 0x8E468220
.long 0x800C460C
.long 0x820D800D
.long 0xE07C1000, 0x8003400D
.long 0xE07C1010, 0x8003440D
.long 0xD0CC0030, 0x0001003E
.long 0xD1000020, 0x00C240F2
.long 0xD1000021, 0x00C242F2
.long 0xD3B14048, 0x18029120
.long 0xD0CC0030, 0x0001003E
.long 0xD1000022, 0x00C244F2
.long 0xD1000023, 0x00C246F2
.long 0xD3B1404A, 0x18029522
.long 0xD0CC0030, 0x0001003E
.long 0xD1000024, 0x00C248F2
.long 0xD1000025, 0x00C24AF2
.long 0xD3B1404C, 0x18029924
.long 0xD0CC0030, 0x0001003E
.long 0xD1000026, 0x00C24CF2
.long 0xD1000027, 0x00C24EF2
.long 0xD3B1404E, 0x18029D26
.long 0xD3B24004, 0x18029118
.long 0xD3B24006, 0x1802951A
.long 0xD3B24008, 0x1802991C
.long 0xD3B2400A, 0x18029D1E
.long 0xBEC41E3A
.long 0x7E900304
.long 0x7E920305
.long 0x7E940306
.long 0x7E960307
.long 0x7E980308
.long 0x7E9A0309
.long 0x7E9C030A
.long 0x7E9E030B
.long 0x8E468220
	;; [unrolled: 34-line block ×3, first 2 shown]
.long 0x800C460C
.long 0x820D800D
.long 0xE07C1000, 0x8003500D
.long 0xE07C1010, 0x8003540D
.long 0xBF800000
.long 0x924602FF, 0x00000100
.long 0xD135000F, 0x00008D00
	;; [unrolled: 3-line block ×3, first 2 shown]
.long 0xE05C1000, 0x800F2010
.long 0xE05C1010, 0x800F2410
.long 0x7E5003A4
.long 0x7E5203A8
	;; [unrolled: 1-line block ×66, first 2 shown]
.long 0xD0CC0030, 0x0001003E
.long 0xD1000020, 0x00C240F2
	;; [unrolled: 1-line block ×20, first 2 shown]
.long 0xBEC41E3A
.long 0x7E500304
	;; [unrolled: 1-line block ×9, first 2 shown]
.long 0x9246FF20, 0x00000074
.long 0x800C460C
.long 0x820D800D
.long 0xE07C1000, 0x8003280D
.long 0xE07C1010, 0x80032C0D
.long 0xD0CC0030, 0x0001003E
.long 0xD1000020, 0x00C240F2
.long 0xD1000021, 0x00C242F2
.long 0xD3B14030, 0x18026120
.long 0xD0CC0030, 0x0001003E
.long 0xD1000022, 0x00C244F2
.long 0xD1000023, 0x00C246F2
.long 0xD3B14032, 0x18026522
.long 0xD0CC0030, 0x0001003E
.long 0xD1000024, 0x00C248F2
.long 0xD1000025, 0x00C24AF2
.long 0xD3B14034, 0x18026924
.long 0xD0CC0030, 0x0001003E
.long 0xD1000026, 0x00C24CF2
.long 0xD1000027, 0x00C24EF2
.long 0xD3B14036, 0x18026D26
.long 0xD3B24004, 0x18026118
.long 0xD3B24006, 0x1802651A
.long 0xD3B24008, 0x1802691C
.long 0xD3B2400A, 0x18026D1E
.long 0xBEC41E3A
.long 0x7E600304
.long 0x7E620305
.long 0x7E640306
.long 0x7E660307
.long 0x7E680308
.long 0x7E6A0309
.long 0x7E6C030A
.long 0x7E6E030B
.long 0x8E468220
.long 0x800C460C
.long 0x820D800D
.long 0xE07C1000, 0x8003300D
.long 0xE07C1010, 0x8003340D
.long 0xD0CC0030, 0x0001003E
.long 0xD1000020, 0x00C240F2
.long 0xD1000021, 0x00C242F2
.long 0xD3B14038, 0x18027120
.long 0xD0CC0030, 0x0001003E
.long 0xD1000022, 0x00C244F2
.long 0xD1000023, 0x00C246F2
.long 0xD3B1403A, 0x18027522
.long 0xD0CC0030, 0x0001003E
.long 0xD1000024, 0x00C248F2
.long 0xD1000025, 0x00C24AF2
.long 0xD3B1403C, 0x18027924
.long 0xD0CC0030, 0x0001003E
.long 0xD1000026, 0x00C24CF2
.long 0xD1000027, 0x00C24EF2
.long 0xD3B1403E, 0x18027D26
.long 0xD3B24004, 0x18027118
.long 0xD3B24006, 0x1802751A
.long 0xD3B24008, 0x1802791C
.long 0xD3B2400A, 0x18027D1E
.long 0xBEC41E3A
.long 0x7E700304
.long 0x7E720305
.long 0x7E740306
.long 0x7E760307
.long 0x7E780308
.long 0x7E7A0309
.long 0x7E7C030A
.long 0x7E7E030B
.long 0x8E468220
	;; [unrolled: 34-line block ×3, first 2 shown]
.long 0x800C460C
.long 0x820D800D
.long 0xE07C1000, 0x8003400D
.long 0xE07C1010, 0x8003440D
.long 0xBF800000
.long 0xBF82363F
.long 0x7E8E02FF, 0x80000000
.long 0xD0C90046, 0x00002900
	;; [unrolled: 1-line block ×3, first 2 shown]
.long 0x86CA4A46
.long 0x924602FF, 0x00000100
.long 0xD135000E, 0x00008D00
.long 0x241C1C82
.long 0xD100000E, 0x012A1D47
.long 0xBF8CC07F
.long 0xBF8A0000
.long 0xD9FE0000, 0x1000000E
.long 0xD9FE0010, 0x1400000E
.long 0x241E0082
.long 0xE05C1000, 0x800F180F
.long 0xE05C1010, 0x800F1C0F
	;; [unrolled: 1-line block ×9, first 2 shown]
.long 0x86CA4A46
.long 0x924602FF, 0x00000100
.long 0xD1350029, 0x00008D00
.long 0x24525282
.long 0xD1000029, 0x012A5347
.long 0x24540082
.long 0xD1FE0028, 0x020A0103
.long 0xD1000028, 0x012A5147
	;; [unrolled: 1-line block ×7, first 2 shown]
.long 0x86CA4A46
.long 0x924602FF, 0x00000100
.long 0xD135002C, 0x00008D00
.long 0x24585882
.long 0xD100002C, 0x012A5947
.long 0x245A0082
.long 0xD1FE002B, 0x020A0103
.long 0xD100002B, 0x012A5747
	;; [unrolled: 1-line block ×7, first 2 shown]
.long 0x86CA4A46
.long 0x924602FF, 0x00000100
.long 0xD135002F, 0x00008D00
.long 0x245E5E82
.long 0xD100002F, 0x012A5F47
.long 0x24800082
.long 0xD1FE002E, 0x020A0103
.long 0xD100002E, 0x012A5D47
.long 0xD1196A01, 0x00013B01
.long 0x92469D22
.long 0xD1340002, 0x00008D02
.long 0x92469D20
.long 0xD1340003, 0x00008D03
.long 0xD0C90046, 0x00002900
.long 0xD0C9004A, 0x00002B01
.long 0x86CA4A46
.long 0x924602FF, 0x00000100
.long 0xD1350042, 0x00008D00
.long 0x24848482
.long 0xD1000042, 0x012A8547
.long 0x24860082
.long 0xD1FE0041, 0x020A0103
.long 0xD1000041, 0x012A8347
	;; [unrolled: 1-line block ×7, first 2 shown]
.long 0x86CA4A46
.long 0x924602FF, 0x00000100
.long 0xD1350045, 0x00008D00
.long 0x248A8A82
.long 0xD1000045, 0x012A8B47
.long 0x248C0082
.long 0xD1FE0044, 0x020A0103
.long 0xD1000044, 0x012A8947
	;; [unrolled: 1-line block ×50, first 2 shown]
.long 0xBF800001
.long 0x0A404028
	;; [unrolled: 1-line block ×50, first 2 shown]
.long 0xD0CC0030, 0x0001003E
.long 0xD1000018, 0x00C230F2
.long 0xD1000019, 0x00C232F2
.long 0xD3B14020, 0x18024118
.long 0xD0CC0030, 0x0001003E
.long 0xD100001A, 0x00C234F2
.long 0xD100001B, 0x00C236F2
.long 0xD3B14022, 0x1802451A
.long 0xD0CC0030, 0x0001003E
.long 0xD100001C, 0x00C238F2
.long 0xD100001D, 0x00C23AF2
.long 0xD3B14024, 0x1802491C
.long 0xD0CC0030, 0x0001003E
.long 0xD100001E, 0x00C23CF2
.long 0xD100001F, 0x00C23EF2
.long 0xD3B14026, 0x18024D1E
.long 0xD3B24004, 0x18024110
.long 0xD3B24006, 0x18024512
.long 0xD3B24008, 0x18024914
.long 0xD3B2400A, 0x18024D16
.long 0xBEC41E3A
.long 0x7E400304
.long 0x7E420305
.long 0x7E440306
.long 0x7E460307
.long 0x7E480308
.long 0x7E4A0309
.long 0x7E4C030A
.long 0x7E4E030B
.long 0xE07C1000, 0x8003200D
.long 0xE07C1010, 0x8003240D
.long 0xD0CC0030, 0x0001003E
.long 0xD1000018, 0x00C230F2
.long 0xD1000019, 0x00C232F2
.long 0xD3B14030, 0x18026118
.long 0xD0CC0030, 0x0001003E
.long 0xD100001A, 0x00C234F2
.long 0xD100001B, 0x00C236F2
.long 0xD3B14032, 0x1802651A
.long 0xD0CC0030, 0x0001003E
.long 0xD100001C, 0x00C238F2
.long 0xD100001D, 0x00C23AF2
.long 0xD3B14034, 0x1802691C
.long 0xD0CC0030, 0x0001003E
.long 0xD100001E, 0x00C23CF2
.long 0xD100001F, 0x00C23EF2
.long 0xD3B14036, 0x18026D1E
.long 0xD3B24004, 0x18026110
.long 0xD3B24006, 0x18026512
.long 0xD3B24008, 0x18026914
.long 0xD3B2400A, 0x18026D16
.long 0xBEC41E3A
.long 0x7E600304
.long 0x7E620305
.long 0x7E640306
.long 0x7E660307
.long 0x7E680308
.long 0x7E6A0309
.long 0x7E6C030A
.long 0x7E6E030B
.long 0xE07C1000, 0x80033028
.long 0xE07C1010, 0x80033428
	;; [unrolled: 31-line block ×6, first 2 shown]
.long 0xBF800000
.long 0x7E8E02FF, 0x80000000
.long 0xD1196A01, 0x00010301
	;; [unrolled: 1-line block ×6, first 2 shown]
.long 0x86CA4A46
.long 0x924602FF, 0x00000100
.long 0xD135000E, 0x00008D00
.long 0x241C1C82
.long 0xD100000E, 0x012A1D47
.long 0xD9FE0000, 0x1000000E
	;; [unrolled: 1-line block ×3, first 2 shown]
.long 0x241E0082
.long 0xE05C1000, 0x800F180F
.long 0xE05C1010, 0x800F1C0F
	;; [unrolled: 1-line block ×9, first 2 shown]
.long 0x86CA4A46
.long 0x924602FF, 0x00000100
.long 0xD1350029, 0x00008D00
.long 0x24525282
.long 0xD1000029, 0x012A5347
.long 0x24540082
.long 0xD1FE0028, 0x020A0103
.long 0xD1000028, 0x012A5147
.long 0xD1196A01, 0x00013B01
.long 0x92469D22
.long 0xD1340002, 0x00008D02
.long 0x92469D20
.long 0xD1340003, 0x00008D03
.long 0xD0C90046, 0x00002900
.long 0xD0C9004A, 0x00002B01
.long 0x86CA4A46
.long 0x924602FF, 0x00000100
.long 0xD135002C, 0x00008D00
.long 0x24585882
.long 0xD100002C, 0x012A5947
.long 0x245A0082
.long 0xD1FE002B, 0x020A0103
.long 0xD100002B, 0x012A5747
.long 0xD1196A01, 0x00010301
.long 0xD1340002, 0x00004502
.long 0xD1340003, 0x00004103
.long 0xD0C90046, 0x00002900
.long 0xD0C9004A, 0x00002B01
.long 0x86CA4A46
.long 0x924602FF, 0x00000100
.long 0xD135002F, 0x00008D00
.long 0x245E5E82
.long 0xD100002F, 0x012A5F47
.long 0x24800082
.long 0xD1FE002E, 0x020A0103
.long 0xD100002E, 0x012A5D47
.long 0xD1196A01, 0x00010301
.long 0xD1340002, 0x00004502
	;; [unrolled: 13-line block ×4, first 2 shown]
.long 0xD3D84022, 0x1800012A
.long 0xD3D84023, 0x1800012E
.long 0xD3D84024, 0x18000132
.long 0xD3D84025, 0x18000136
.long 0xD3D84026, 0x1800013A
.long 0xD3D84027, 0x1800013E
.long 0xD3D84030, 0x18000123
.long 0xD3D84031, 0x18000127
.long 0xD3D84032, 0x1800012B
.long 0xD3D84033, 0x1800012F
.long 0xD3D84034, 0x18000133
.long 0xD3D84035, 0x18000137
.long 0xD3D84036, 0x1800013B
.long 0xD3D84037, 0x1800013F
.long 0xD3D84038, 0x18000140
.long 0xD3D84039, 0x18000144
.long 0xD3D8403A, 0x18000148
.long 0xD3D8403B, 0x1800014C
.long 0xD3D8403C, 0x18000150
.long 0xD3D8403D, 0x18000154
.long 0xD3D8403E, 0x18000158
.long 0xD3D8403F, 0x1800015C
.long 0xD3D84048, 0x18000141
.long 0xD3D84049, 0x18000145
.long 0xD3D8404A, 0x18000149
.long 0xD3D8404B, 0x1800014D
.long 0xD3D8404C, 0x18000151
.long 0xD3D8404D, 0x18000155
.long 0xD3D8404E, 0x18000159
.long 0xD3D8404F, 0x1800015D
.long 0xD3D84050, 0x18000142
.long 0xD3D84051, 0x18000146
.long 0xD3D84052, 0x1800014A
.long 0xD3D84053, 0x1800014E
.long 0xD3D84054, 0x18000152
.long 0xD3D84055, 0x18000156
.long 0xD3D84056, 0x1800015A
.long 0xD3D84057, 0x1800015E
.long 0xD3D84058, 0x18000143
.long 0xD3D84059, 0x18000147
.long 0xD3D8405A, 0x1800014B
.long 0xD3D8405B, 0x1800014F
.long 0xD3D8405C, 0x18000153
.long 0xD3D8405D, 0x18000157
.long 0xD3D8405E, 0x1800015B
.long 0xD3D8405F, 0x1800015F
.long 0xBF800001
.long 0x0A404028
	;; [unrolled: 1-line block ×50, first 2 shown]
.long 0xD0CC0030, 0x0001003E
.long 0xD1000018, 0x00C230F2
.long 0xD1000019, 0x00C232F2
.long 0xD3B14020, 0x18024118
.long 0xD0CC0030, 0x0001003E
.long 0xD100001A, 0x00C234F2
.long 0xD100001B, 0x00C236F2
.long 0xD3B14022, 0x1802451A
.long 0xD0CC0030, 0x0001003E
.long 0xD100001C, 0x00C238F2
.long 0xD100001D, 0x00C23AF2
.long 0xD3B14024, 0x1802491C
.long 0xD0CC0030, 0x0001003E
.long 0xD100001E, 0x00C23CF2
.long 0xD100001F, 0x00C23EF2
.long 0xD3B14026, 0x18024D1E
.long 0xD3B24004, 0x18024110
.long 0xD3B24006, 0x18024512
.long 0xD3B24008, 0x18024914
.long 0xD3B2400A, 0x18024D16
.long 0xBEC41E3A
.long 0x7E400304
.long 0x7E420305
.long 0x7E440306
.long 0x7E460307
.long 0x7E480308
.long 0x7E4A0309
.long 0x7E4C030A
.long 0x7E4E030B
.long 0xE07C1000, 0x8003200D
.long 0xE07C1010, 0x8003240D
.long 0xD0CC0030, 0x0001003E
.long 0xD1000018, 0x00C230F2
.long 0xD1000019, 0x00C232F2
.long 0xD3B14030, 0x18026118
.long 0xD0CC0030, 0x0001003E
.long 0xD100001A, 0x00C234F2
.long 0xD100001B, 0x00C236F2
.long 0xD3B14032, 0x1802651A
.long 0xD0CC0030, 0x0001003E
.long 0xD100001C, 0x00C238F2
.long 0xD100001D, 0x00C23AF2
.long 0xD3B14034, 0x1802691C
.long 0xD0CC0030, 0x0001003E
.long 0xD100001E, 0x00C23CF2
.long 0xD100001F, 0x00C23EF2
.long 0xD3B14036, 0x18026D1E
.long 0xD3B24004, 0x18026110
.long 0xD3B24006, 0x18026512
.long 0xD3B24008, 0x18026914
.long 0xD3B2400A, 0x18026D16
.long 0xBEC41E3A
.long 0x7E600304
.long 0x7E620305
.long 0x7E640306
.long 0x7E660307
.long 0x7E680308
.long 0x7E6A0309
.long 0x7E6C030A
.long 0x7E6E030B
.long 0xE07C1000, 0x80033028
.long 0xE07C1010, 0x80033428
.long 0xD0CC0030, 0x0001003E
.long 0xD1000018, 0x00C230F2
.long 0xD1000019, 0x00C232F2
.long 0xD3B14038, 0x18027118
.long 0xD0CC0030, 0x0001003E
.long 0xD100001A, 0x00C234F2
.long 0xD100001B, 0x00C236F2
.long 0xD3B1403A, 0x1802751A
.long 0xD0CC0030, 0x0001003E
.long 0xD100001C, 0x00C238F2
.long 0xD100001D, 0x00C23AF2
.long 0xD3B1403C, 0x1802791C
.long 0xD0CC0030, 0x0001003E
.long 0xD100001E, 0x00C23CF2
.long 0xD100001F, 0x00C23EF2
.long 0xD3B1403E, 0x18027D1E
.long 0xD3B24004, 0x18027110
.long 0xD3B24006, 0x18027512
.long 0xD3B24008, 0x18027914
.long 0xD3B2400A, 0x18027D16
.long 0xBEC41E3A
.long 0x7E700304
.long 0x7E720305
.long 0x7E740306
.long 0x7E760307
.long 0x7E780308
.long 0x7E7A0309
.long 0x7E7C030A
.long 0x7E7E030B
.long 0xE07C1000, 0x8003382B
.long 0xE07C1010, 0x80033C2B
.long 0xD0CC0030, 0x0001003E
.long 0xD1000018, 0x00C230F2
.long 0xD1000019, 0x00C232F2
.long 0xD3B14048, 0x18029118
.long 0xD0CC0030, 0x0001003E
.long 0xD100001A, 0x00C234F2
.long 0xD100001B, 0x00C236F2
.long 0xD3B1404A, 0x1802951A
.long 0xD0CC0030, 0x0001003E
.long 0xD100001C, 0x00C238F2
.long 0xD100001D, 0x00C23AF2
.long 0xD3B1404C, 0x1802991C
.long 0xD0CC0030, 0x0001003E
.long 0xD100001E, 0x00C23CF2
.long 0xD100001F, 0x00C23EF2
.long 0xD3B1404E, 0x18029D1E
.long 0xD3B24004, 0x18029110
.long 0xD3B24006, 0x18029512
.long 0xD3B24008, 0x18029914
.long 0xD3B2400A, 0x18029D16
.long 0xBEC41E3A
.long 0x7E900304
.long 0x7E920305
.long 0x7E940306
.long 0x7E960307
.long 0x7E980308
.long 0x7E9A0309
.long 0x7E9C030A
.long 0x7E9E030B
.long 0xE07C1000, 0x8003482E
.long 0xE07C1010, 0x80034C2E
.long 0xD0CC0030, 0x0001003E
.long 0xD1000018, 0x00C230F2
.long 0xD1000019, 0x00C232F2
.long 0xD3B14050, 0x1802A118
.long 0xD0CC0030, 0x0001003E
.long 0xD100001A, 0x00C234F2
.long 0xD100001B, 0x00C236F2
.long 0xD3B14052, 0x1802A51A
.long 0xD0CC0030, 0x0001003E
.long 0xD100001C, 0x00C238F2
.long 0xD100001D, 0x00C23AF2
.long 0xD3B14054, 0x1802A91C
.long 0xD0CC0030, 0x0001003E
.long 0xD100001E, 0x00C23CF2
.long 0xD100001F, 0x00C23EF2
.long 0xD3B14056, 0x1802AD1E
.long 0xD3B24004, 0x1802A110
.long 0xD3B24006, 0x1802A512
.long 0xD3B24008, 0x1802A914
.long 0xD3B2400A, 0x1802AD16
.long 0xBEC41E3A
.long 0x7EA00304
.long 0x7EA20305
.long 0x7EA40306
.long 0x7EA60307
.long 0x7EA80308
.long 0x7EAA0309
.long 0x7EAC030A
.long 0x7EAE030B
.long 0xE07C1000, 0x80035041
.long 0xE07C1010, 0x80035441
.long 0xD0CC0030, 0x0001003E
.long 0xD1000018, 0x00C230F2
.long 0xD1000019, 0x00C232F2
.long 0xD3B14058, 0x1802B118
.long 0xD0CC0030, 0x0001003E
.long 0xD100001A, 0x00C234F2
.long 0xD100001B, 0x00C236F2
.long 0xD3B1405A, 0x1802B51A
.long 0xD0CC0030, 0x0001003E
.long 0xD100001C, 0x00C238F2
.long 0xD100001D, 0x00C23AF2
.long 0xD3B1405C, 0x1802B91C
.long 0xD0CC0030, 0x0001003E
.long 0xD100001E, 0x00C23CF2
.long 0xD100001F, 0x00C23EF2
.long 0xD3B1405E, 0x1802BD1E
.long 0xD3B24004, 0x1802B110
.long 0xD3B24006, 0x1802B512
.long 0xD3B24008, 0x1802B914
.long 0xD3B2400A, 0x1802BD16
.long 0xBEC41E3A
.long 0x7EB00304
.long 0x7EB20305
.long 0x7EB40306
.long 0x7EB60307
.long 0x7EB80308
.long 0x7EBA0309
.long 0x7EBC030A
.long 0x7EBE030B
.long 0xE07C1000, 0x80035844
.long 0xE07C1010, 0x80035C44
.long 0xBF800000
.long 0x7E8E02FF, 0x80000000
.long 0xD1196A01, 0x00013B01
.long 0x92469D22
.long 0xD1340002, 0x00008D02
.long 0x92469D20
.long 0xD1340003, 0x00008D03
.long 0xD0C90046, 0x00002900
	;; [unrolled: 1-line block ×3, first 2 shown]
.long 0x86CA4A46
.long 0x924602FF, 0x00000100
.long 0xD135000E, 0x00008D00
.long 0x241C1C82
.long 0xD100000E, 0x012A1D47
.long 0xD9FE0000, 0x1000000E
	;; [unrolled: 1-line block ×3, first 2 shown]
.long 0x241E0082
.long 0xE05C1000, 0x800F180F
.long 0xE05C1010, 0x800F1C0F
	;; [unrolled: 1-line block ×9, first 2 shown]
.long 0x86CA4A46
.long 0x924602FF, 0x00000100
.long 0xD1350029, 0x00008D00
.long 0x24525282
.long 0xD1000029, 0x012A5347
.long 0x24540082
.long 0xD1FE0028, 0x020A0103
.long 0xD1000028, 0x012A5147
.long 0xD1196A01, 0x00010301
.long 0xD1340002, 0x00004502
.long 0xD1340003, 0x00004103
.long 0xD0C90046, 0x00002900
.long 0xD0C9004A, 0x00002B01
.long 0x86CA4A46
.long 0x924602FF, 0x00000100
.long 0xD135002C, 0x00008D00
.long 0x24585882
.long 0xD100002C, 0x012A5947
.long 0x245A0082
.long 0xD1FE002B, 0x020A0103
.long 0xD100002B, 0x012A5747
	;; [unrolled: 1-line block ×7, first 2 shown]
.long 0x86CA4A46
.long 0x924602FF, 0x00000100
.long 0xD135002F, 0x00008D00
.long 0x245E5E82
.long 0xD100002F, 0x012A5F47
.long 0x24800082
.long 0xD1FE002E, 0x020A0103
.long 0xD100002E, 0x012A5D47
.long 0xD1196A01, 0x00013B01
.long 0x92469D22
.long 0xD1340002, 0x00008D02
.long 0x92469D20
.long 0xD1340003, 0x00008D03
.long 0xD0C90046, 0x00002900
	;; [unrolled: 1-line block ×3, first 2 shown]
.long 0x86CA4A46
.long 0x924602FF, 0x00000100
.long 0xD1350042, 0x00008D00
.long 0x24848482
.long 0xD1000042, 0x012A8547
.long 0x24860082
.long 0xD1FE0041, 0x020A0103
.long 0xD1000041, 0x012A8347
	;; [unrolled: 1-line block ×7, first 2 shown]
.long 0x86CA4A46
.long 0x924602FF, 0x00000100
.long 0xD1350045, 0x00008D00
.long 0x248A8A82
.long 0xD1000045, 0x012A8B47
.long 0x248C0082
.long 0xD1FE0044, 0x020A0103
.long 0xD1000044, 0x012A8947
	;; [unrolled: 1-line block ×50, first 2 shown]
.long 0xBF800001
.long 0x0A404028
	;; [unrolled: 1-line block ×50, first 2 shown]
.long 0xD0CC0030, 0x0001003E
.long 0xD1000018, 0x00C230F2
.long 0xD1000019, 0x00C232F2
.long 0xD3B14020, 0x18024118
.long 0xD0CC0030, 0x0001003E
.long 0xD100001A, 0x00C234F2
.long 0xD100001B, 0x00C236F2
.long 0xD3B14022, 0x1802451A
.long 0xD0CC0030, 0x0001003E
.long 0xD100001C, 0x00C238F2
.long 0xD100001D, 0x00C23AF2
.long 0xD3B14024, 0x1802491C
.long 0xD0CC0030, 0x0001003E
.long 0xD100001E, 0x00C23CF2
.long 0xD100001F, 0x00C23EF2
.long 0xD3B14026, 0x18024D1E
.long 0xD3B24004, 0x18024110
.long 0xD3B24006, 0x18024512
.long 0xD3B24008, 0x18024914
.long 0xD3B2400A, 0x18024D16
.long 0xBEC41E3A
.long 0x7E400304
.long 0x7E420305
.long 0x7E440306
.long 0x7E460307
.long 0x7E480308
.long 0x7E4A0309
.long 0x7E4C030A
.long 0x7E4E030B
.long 0xE07C1000, 0x8003200D
.long 0xE07C1010, 0x8003240D
.long 0xD0CC0030, 0x0001003E
.long 0xD1000018, 0x00C230F2
.long 0xD1000019, 0x00C232F2
.long 0xD3B14030, 0x18026118
.long 0xD0CC0030, 0x0001003E
.long 0xD100001A, 0x00C234F2
.long 0xD100001B, 0x00C236F2
.long 0xD3B14032, 0x1802651A
.long 0xD0CC0030, 0x0001003E
.long 0xD100001C, 0x00C238F2
.long 0xD100001D, 0x00C23AF2
.long 0xD3B14034, 0x1802691C
.long 0xD0CC0030, 0x0001003E
.long 0xD100001E, 0x00C23CF2
.long 0xD100001F, 0x00C23EF2
.long 0xD3B14036, 0x18026D1E
.long 0xD3B24004, 0x18026110
.long 0xD3B24006, 0x18026512
.long 0xD3B24008, 0x18026914
.long 0xD3B2400A, 0x18026D16
.long 0xBEC41E3A
.long 0x7E600304
.long 0x7E620305
.long 0x7E640306
.long 0x7E660307
.long 0x7E680308
.long 0x7E6A0309
.long 0x7E6C030A
.long 0x7E6E030B
.long 0xE07C1000, 0x80033028
.long 0xE07C1010, 0x80033428
	;; [unrolled: 31-line block ×6, first 2 shown]
.long 0xBF800000
.long 0x7E8E02FF, 0x80000000
.long 0xD1196A01, 0x00010301
	;; [unrolled: 1-line block ×6, first 2 shown]
.long 0x86CA4A46
.long 0x924602FF, 0x00000100
.long 0xD135000E, 0x00008D00
.long 0x241C1C82
.long 0xD100000E, 0x012A1D47
.long 0xD9FE0000, 0x1000000E
.long 0xD9FE0010, 0x1400000E
.long 0x241E0082
.long 0xE05C1000, 0x800F180F
.long 0xE05C1010, 0x800F1C0F
	;; [unrolled: 1-line block ×9, first 2 shown]
.long 0x86CA4A46
.long 0x924602FF, 0x00000100
.long 0xD1350029, 0x00008D00
.long 0x24525282
.long 0xD1000029, 0x012A5347
.long 0x24540082
.long 0xD1FE0028, 0x020A0103
.long 0xD1000028, 0x012A5147
	;; [unrolled: 1-line block ×3, first 2 shown]
.long 0x92469D22
.long 0xD1340002, 0x00008D02
.long 0x92469D20
.long 0xD1340003, 0x00008D03
.long 0xD0C90046, 0x00002900
.long 0xD0C9004A, 0x00002B01
.long 0x86CA4A46
.long 0x924602FF, 0x00000100
.long 0xD135002C, 0x00008D00
.long 0x24585882
.long 0xD100002C, 0x012A5947
.long 0x245A0082
.long 0xD1FE002B, 0x020A0103
.long 0xD100002B, 0x012A5747
.long 0xD1196A01, 0x00010301
.long 0xD1340002, 0x00004502
.long 0xD1340003, 0x00004103
.long 0xD0C90046, 0x00002900
.long 0xD0C9004A, 0x00002B01
.long 0x86CA4A46
.long 0x924602FF, 0x00000100
.long 0xD135002F, 0x00008D00
.long 0x245E5E82
.long 0xD100002F, 0x012A5F47
.long 0x24800082
.long 0xD1FE002E, 0x020A0103
.long 0xD100002E, 0x012A5D47
.long 0xD1196A01, 0x00010301
.long 0xD1340002, 0x00004502
	;; [unrolled: 13-line block ×4, first 2 shown]
.long 0xD3D84022, 0x1800018A
.long 0xD3D84023, 0x1800018E
	;; [unrolled: 1-line block ×46, first 2 shown]
.long 0xBF800001
.long 0x0A404028
	;; [unrolled: 1-line block ×50, first 2 shown]
.long 0xD0CC0030, 0x0001003E
.long 0xD1000018, 0x00C230F2
.long 0xD1000019, 0x00C232F2
.long 0xD3B14020, 0x18024118
.long 0xD0CC0030, 0x0001003E
.long 0xD100001A, 0x00C234F2
.long 0xD100001B, 0x00C236F2
.long 0xD3B14022, 0x1802451A
.long 0xD0CC0030, 0x0001003E
.long 0xD100001C, 0x00C238F2
.long 0xD100001D, 0x00C23AF2
.long 0xD3B14024, 0x1802491C
.long 0xD0CC0030, 0x0001003E
.long 0xD100001E, 0x00C23CF2
.long 0xD100001F, 0x00C23EF2
.long 0xD3B14026, 0x18024D1E
.long 0xD3B24004, 0x18024110
.long 0xD3B24006, 0x18024512
.long 0xD3B24008, 0x18024914
.long 0xD3B2400A, 0x18024D16
.long 0xBEC41E3A
.long 0x7E400304
.long 0x7E420305
.long 0x7E440306
.long 0x7E460307
.long 0x7E480308
.long 0x7E4A0309
.long 0x7E4C030A
.long 0x7E4E030B
.long 0xE07C1000, 0x8003200D
.long 0xE07C1010, 0x8003240D
.long 0xD0CC0030, 0x0001003E
.long 0xD1000018, 0x00C230F2
.long 0xD1000019, 0x00C232F2
.long 0xD3B14030, 0x18026118
.long 0xD0CC0030, 0x0001003E
.long 0xD100001A, 0x00C234F2
.long 0xD100001B, 0x00C236F2
.long 0xD3B14032, 0x1802651A
.long 0xD0CC0030, 0x0001003E
.long 0xD100001C, 0x00C238F2
.long 0xD100001D, 0x00C23AF2
.long 0xD3B14034, 0x1802691C
.long 0xD0CC0030, 0x0001003E
.long 0xD100001E, 0x00C23CF2
.long 0xD100001F, 0x00C23EF2
.long 0xD3B14036, 0x18026D1E
.long 0xD3B24004, 0x18026110
.long 0xD3B24006, 0x18026512
.long 0xD3B24008, 0x18026914
.long 0xD3B2400A, 0x18026D16
.long 0xBEC41E3A
.long 0x7E600304
.long 0x7E620305
.long 0x7E640306
.long 0x7E660307
.long 0x7E680308
.long 0x7E6A0309
.long 0x7E6C030A
.long 0x7E6E030B
.long 0xE07C1000, 0x80033028
.long 0xE07C1010, 0x80033428
.long 0xD0CC0030, 0x0001003E
.long 0xD1000018, 0x00C230F2
.long 0xD1000019, 0x00C232F2
.long 0xD3B14038, 0x18027118
.long 0xD0CC0030, 0x0001003E
.long 0xD100001A, 0x00C234F2
.long 0xD100001B, 0x00C236F2
.long 0xD3B1403A, 0x1802751A
.long 0xD0CC0030, 0x0001003E
.long 0xD100001C, 0x00C238F2
.long 0xD100001D, 0x00C23AF2
.long 0xD3B1403C, 0x1802791C
.long 0xD0CC0030, 0x0001003E
.long 0xD100001E, 0x00C23CF2
.long 0xD100001F, 0x00C23EF2
.long 0xD3B1403E, 0x18027D1E
.long 0xD3B24004, 0x18027110
.long 0xD3B24006, 0x18027512
.long 0xD3B24008, 0x18027914
.long 0xD3B2400A, 0x18027D16
.long 0xBEC41E3A
.long 0x7E700304
.long 0x7E720305
.long 0x7E740306
.long 0x7E760307
.long 0x7E780308
.long 0x7E7A0309
.long 0x7E7C030A
.long 0x7E7E030B
.long 0xE07C1000, 0x8003382B
.long 0xE07C1010, 0x80033C2B
.long 0xD0CC0030, 0x0001003E
.long 0xD1000018, 0x00C230F2
.long 0xD1000019, 0x00C232F2
.long 0xD3B14048, 0x18029118
.long 0xD0CC0030, 0x0001003E
.long 0xD100001A, 0x00C234F2
.long 0xD100001B, 0x00C236F2
.long 0xD3B1404A, 0x1802951A
.long 0xD0CC0030, 0x0001003E
.long 0xD100001C, 0x00C238F2
.long 0xD100001D, 0x00C23AF2
.long 0xD3B1404C, 0x1802991C
.long 0xD0CC0030, 0x0001003E
.long 0xD100001E, 0x00C23CF2
.long 0xD100001F, 0x00C23EF2
.long 0xD3B1404E, 0x18029D1E
.long 0xD3B24004, 0x18029110
.long 0xD3B24006, 0x18029512
.long 0xD3B24008, 0x18029914
.long 0xD3B2400A, 0x18029D16
.long 0xBEC41E3A
.long 0x7E900304
.long 0x7E920305
.long 0x7E940306
.long 0x7E960307
.long 0x7E980308
.long 0x7E9A0309
.long 0x7E9C030A
.long 0x7E9E030B
.long 0xE07C1000, 0x8003482E
.long 0xE07C1010, 0x80034C2E
.long 0xD0CC0030, 0x0001003E
.long 0xD1000018, 0x00C230F2
.long 0xD1000019, 0x00C232F2
.long 0xD3B14050, 0x1802A118
.long 0xD0CC0030, 0x0001003E
.long 0xD100001A, 0x00C234F2
.long 0xD100001B, 0x00C236F2
.long 0xD3B14052, 0x1802A51A
.long 0xD0CC0030, 0x0001003E
.long 0xD100001C, 0x00C238F2
.long 0xD100001D, 0x00C23AF2
.long 0xD3B14054, 0x1802A91C
.long 0xD0CC0030, 0x0001003E
.long 0xD100001E, 0x00C23CF2
.long 0xD100001F, 0x00C23EF2
.long 0xD3B14056, 0x1802AD1E
.long 0xD3B24004, 0x1802A110
.long 0xD3B24006, 0x1802A512
.long 0xD3B24008, 0x1802A914
.long 0xD3B2400A, 0x1802AD16
.long 0xBEC41E3A
.long 0x7EA00304
.long 0x7EA20305
.long 0x7EA40306
.long 0x7EA60307
.long 0x7EA80308
.long 0x7EAA0309
.long 0x7EAC030A
.long 0x7EAE030B
.long 0xE07C1000, 0x80035041
.long 0xE07C1010, 0x80035441
.long 0xD0CC0030, 0x0001003E
.long 0xD1000018, 0x00C230F2
.long 0xD1000019, 0x00C232F2
.long 0xD3B14058, 0x1802B118
.long 0xD0CC0030, 0x0001003E
.long 0xD100001A, 0x00C234F2
.long 0xD100001B, 0x00C236F2
.long 0xD3B1405A, 0x1802B51A
.long 0xD0CC0030, 0x0001003E
.long 0xD100001C, 0x00C238F2
.long 0xD100001D, 0x00C23AF2
.long 0xD3B1405C, 0x1802B91C
.long 0xD0CC0030, 0x0001003E
.long 0xD100001E, 0x00C23CF2
.long 0xD100001F, 0x00C23EF2
.long 0xD3B1405E, 0x1802BD1E
.long 0xD3B24004, 0x1802B110
.long 0xD3B24006, 0x1802B512
.long 0xD3B24008, 0x1802B914
.long 0xD3B2400A, 0x1802BD16
.long 0xBEC41E3A
.long 0x7EB00304
.long 0x7EB20305
.long 0x7EB40306
.long 0x7EB60307
.long 0x7EB80308
.long 0x7EBA0309
.long 0x7EBC030A
.long 0x7EBE030B
.long 0xE07C1000, 0x80035844
.long 0xE07C1010, 0x80035C44
.long 0xBF800000
.long 0x7E8E02FF, 0x80000000
.long 0xD1196A01, 0x00013B01
.long 0x92469D22
.long 0xD1340002, 0x00008D02
.long 0x92469D20
.long 0xD1340003, 0x00008D03
.long 0xD0C90046, 0x00002900
	;; [unrolled: 1-line block ×3, first 2 shown]
.long 0x86CA4A46
.long 0x924602FF, 0x00000100
.long 0xD135000E, 0x00008D00
.long 0x241C1C82
.long 0xD100000E, 0x012A1D47
.long 0xD9FE0000, 0x1000000E
	;; [unrolled: 1-line block ×3, first 2 shown]
.long 0x241E0082
.long 0xE05C1000, 0x800F180F
.long 0xE05C1010, 0x800F1C0F
	;; [unrolled: 1-line block ×9, first 2 shown]
.long 0x86CA4A46
.long 0x924602FF, 0x00000100
.long 0xD1350029, 0x00008D00
.long 0x24525282
.long 0xD1000029, 0x012A5347
.long 0x24540082
.long 0xD1FE0028, 0x020A0103
.long 0xD1000028, 0x012A5147
	;; [unrolled: 1-line block ×7, first 2 shown]
.long 0x86CA4A46
.long 0x924602FF, 0x00000100
.long 0xD135002C, 0x00008D00
.long 0x24585882
.long 0xD100002C, 0x012A5947
.long 0x245A0082
.long 0xD1FE002B, 0x020A0103
.long 0xD100002B, 0x012A5747
	;; [unrolled: 1-line block ×7, first 2 shown]
.long 0x86CA4A46
.long 0x924602FF, 0x00000100
.long 0xD135002F, 0x00008D00
.long 0x245E5E82
.long 0xD100002F, 0x012A5F47
.long 0x24800082
.long 0xD1FE002E, 0x020A0103
.long 0xD100002E, 0x012A5D47
	;; [unrolled: 1-line block ×3, first 2 shown]
.long 0x92469D22
.long 0xD1340002, 0x00008D02
.long 0x92469D20
.long 0xD1340003, 0x00008D03
.long 0xD0C90046, 0x00002900
.long 0xD0C9004A, 0x00002B01
.long 0x86CA4A46
.long 0x924602FF, 0x00000100
.long 0xD1350042, 0x00008D00
.long 0x24848482
.long 0xD1000042, 0x012A8547
.long 0x24860082
.long 0xD1FE0041, 0x020A0103
.long 0xD1000041, 0x012A8347
	;; [unrolled: 1-line block ×7, first 2 shown]
.long 0x86CA4A46
.long 0x924602FF, 0x00000100
.long 0xD1350045, 0x00008D00
.long 0x248A8A82
.long 0xD1000045, 0x012A8B47
.long 0x248C0082
.long 0xD1FE0044, 0x020A0103
.long 0xD1000044, 0x012A8947
.long 0xD3D84020, 0x180001C0
.long 0xD3D84021, 0x180001C4
.long 0xD3D84022, 0x180001C8
.long 0xD3D84023, 0x180001CC
.long 0xD3D84024, 0x180001D0
.long 0xD3D84025, 0x180001D4
.long 0xD3D84026, 0x180001D8
.long 0xD3D84027, 0x180001DC
.long 0xD3D84030, 0x180001C1
.long 0xD3D84031, 0x180001C5
.long 0xD3D84032, 0x180001C9
.long 0xD3D84033, 0x180001CD
.long 0xD3D84034, 0x180001D1
.long 0xD3D84035, 0x180001D5
.long 0xD3D84036, 0x180001D9
.long 0xD3D84037, 0x180001DD
.long 0xD3D84038, 0x180001C2
.long 0xD3D84039, 0x180001C6
.long 0xD3D8403A, 0x180001CA
.long 0xD3D8403B, 0x180001CE
.long 0xD3D8403C, 0x180001D2
.long 0xD3D8403D, 0x180001D6
.long 0xD3D8403E, 0x180001DA
.long 0xD3D8403F, 0x180001DE
.long 0xD3D84048, 0x180001C3
.long 0xD3D84049, 0x180001C7
.long 0xD3D8404A, 0x180001CB
.long 0xD3D8404B, 0x180001CF
.long 0xD3D8404C, 0x180001D3
.long 0xD3D8404D, 0x180001D7
.long 0xD3D8404E, 0x180001DB
.long 0xD3D8404F, 0x180001DF
.long 0xD3D84050, 0x180001E0
.long 0xD3D84051, 0x180001E4
.long 0xD3D84052, 0x180001E8
.long 0xD3D84053, 0x180001EC
.long 0xD3D84054, 0x180001F0
.long 0xD3D84055, 0x180001F4
.long 0xD3D84056, 0x180001F8
.long 0xD3D84057, 0x180001FC
.long 0xD3D84058, 0x180001E1
.long 0xD3D84059, 0x180001E5
.long 0xD3D8405A, 0x180001E9
.long 0xD3D8405B, 0x180001ED
.long 0xD3D8405C, 0x180001F1
.long 0xD3D8405D, 0x180001F5
.long 0xD3D8405E, 0x180001F9
.long 0xD3D8405F, 0x180001FD
.long 0xBF800001
.long 0x0A404028
	;; [unrolled: 1-line block ×50, first 2 shown]
.long 0xD0CC0030, 0x0001003E
.long 0xD1000018, 0x00C230F2
.long 0xD1000019, 0x00C232F2
.long 0xD3B14020, 0x18024118
.long 0xD0CC0030, 0x0001003E
.long 0xD100001A, 0x00C234F2
.long 0xD100001B, 0x00C236F2
.long 0xD3B14022, 0x1802451A
.long 0xD0CC0030, 0x0001003E
.long 0xD100001C, 0x00C238F2
.long 0xD100001D, 0x00C23AF2
.long 0xD3B14024, 0x1802491C
.long 0xD0CC0030, 0x0001003E
.long 0xD100001E, 0x00C23CF2
.long 0xD100001F, 0x00C23EF2
.long 0xD3B14026, 0x18024D1E
.long 0xD3B24004, 0x18024110
.long 0xD3B24006, 0x18024512
.long 0xD3B24008, 0x18024914
.long 0xD3B2400A, 0x18024D16
.long 0xBEC41E3A
.long 0x7E400304
.long 0x7E420305
.long 0x7E440306
.long 0x7E460307
.long 0x7E480308
.long 0x7E4A0309
.long 0x7E4C030A
.long 0x7E4E030B
.long 0xE07C1000, 0x8003200D
.long 0xE07C1010, 0x8003240D
.long 0xD0CC0030, 0x0001003E
.long 0xD1000018, 0x00C230F2
.long 0xD1000019, 0x00C232F2
.long 0xD3B14030, 0x18026118
.long 0xD0CC0030, 0x0001003E
.long 0xD100001A, 0x00C234F2
.long 0xD100001B, 0x00C236F2
.long 0xD3B14032, 0x1802651A
.long 0xD0CC0030, 0x0001003E
.long 0xD100001C, 0x00C238F2
.long 0xD100001D, 0x00C23AF2
.long 0xD3B14034, 0x1802691C
.long 0xD0CC0030, 0x0001003E
.long 0xD100001E, 0x00C23CF2
.long 0xD100001F, 0x00C23EF2
.long 0xD3B14036, 0x18026D1E
.long 0xD3B24004, 0x18026110
.long 0xD3B24006, 0x18026512
.long 0xD3B24008, 0x18026914
.long 0xD3B2400A, 0x18026D16
.long 0xBEC41E3A
.long 0x7E600304
.long 0x7E620305
.long 0x7E640306
.long 0x7E660307
.long 0x7E680308
.long 0x7E6A0309
.long 0x7E6C030A
.long 0x7E6E030B
.long 0xE07C1000, 0x80033028
.long 0xE07C1010, 0x80033428
	;; [unrolled: 31-line block ×6, first 2 shown]
.long 0xBF800000
.long 0x7E8E02FF, 0x80000000
.long 0xD1196A01, 0x00010301
	;; [unrolled: 1-line block ×6, first 2 shown]
.long 0x86CA4A46
.long 0x924602FF, 0x00000100
.long 0xD135000E, 0x00008D00
.long 0x241C1C82
.long 0xD100000E, 0x012A1D47
.long 0xD9FE0000, 0x1000000E
	;; [unrolled: 1-line block ×3, first 2 shown]
.long 0x241E0082
.long 0xE05C1000, 0x800F180F
.long 0xE05C1010, 0x800F1C0F
.long 0xD1FE000D, 0x020A0103
.long 0xD100000D, 0x012A1B47
.long 0xD1196A01, 0x00010301
.long 0xD1340002, 0x00004502
.long 0xD1340003, 0x00004103
.long 0xD0C90046, 0x00002900
.long 0xD0C9004A, 0x00002B01
.long 0x86CA4A46
.long 0x924602FF, 0x00000100
.long 0xD1350029, 0x00008D00
.long 0x24525282
.long 0xD1000029, 0x012A5347
.long 0x24540082
.long 0xD1FE0028, 0x020A0103
.long 0xD1000028, 0x012A5147
	;; [unrolled: 1-line block ×3, first 2 shown]
.long 0x92469D22
.long 0xD1340002, 0x00008D02
.long 0x92469D20
.long 0xD1340003, 0x00008D03
.long 0xD0C90046, 0x00002900
.long 0xD0C9004A, 0x00002B01
.long 0x86CA4A46
.long 0x924602FF, 0x00000100
.long 0xD135002C, 0x00008D00
.long 0x24585882
.long 0xD100002C, 0x012A5947
.long 0x245A0082
.long 0xD1FE002B, 0x020A0103
.long 0xD100002B, 0x012A5747
.long 0xD1196A01, 0x00010301
.long 0xD1340002, 0x00004502
.long 0xD1340003, 0x00004103
.long 0xD0C90046, 0x00002900
.long 0xD0C9004A, 0x00002B01
.long 0x86CA4A46
.long 0x924602FF, 0x00000100
.long 0xD135002F, 0x00008D00
.long 0x245E5E82
.long 0xD100002F, 0x012A5F47
.long 0x24800082
.long 0xD1FE002E, 0x020A0103
.long 0xD100002E, 0x012A5D47
.long 0xD1196A01, 0x00010301
.long 0xD1340002, 0x00004502
	;; [unrolled: 13-line block ×4, first 2 shown]
.long 0xD3D84022, 0x180001EA
.long 0xD3D84023, 0x180001EE
	;; [unrolled: 1-line block ×14, first 2 shown]
.long 0x7E700384
.long 0x7E720388
	;; [unrolled: 1-line block ×82, first 2 shown]
.long 0xD0CC0030, 0x0001003E
.long 0xD1000018, 0x00C230F2
.long 0xD1000019, 0x00C232F2
.long 0xD3B14020, 0x18024118
.long 0xD0CC0030, 0x0001003E
.long 0xD100001A, 0x00C234F2
.long 0xD100001B, 0x00C236F2
.long 0xD3B14022, 0x1802451A
.long 0xD0CC0030, 0x0001003E
.long 0xD100001C, 0x00C238F2
.long 0xD100001D, 0x00C23AF2
.long 0xD3B14024, 0x1802491C
.long 0xD0CC0030, 0x0001003E
.long 0xD100001E, 0x00C23CF2
.long 0xD100001F, 0x00C23EF2
.long 0xD3B14026, 0x18024D1E
.long 0xD3B24004, 0x18024110
.long 0xD3B24006, 0x18024512
.long 0xD3B24008, 0x18024914
.long 0xD3B2400A, 0x18024D16
.long 0xBEC41E3A
.long 0x7E400304
.long 0x7E420305
.long 0x7E440306
.long 0x7E460307
.long 0x7E480308
.long 0x7E4A0309
.long 0x7E4C030A
.long 0x7E4E030B
.long 0xE07C1000, 0x8003200D
.long 0xE07C1010, 0x8003240D
.long 0xD0CC0030, 0x0001003E
.long 0xD1000018, 0x00C230F2
.long 0xD1000019, 0x00C232F2
.long 0xD3B14030, 0x18026118
.long 0xD0CC0030, 0x0001003E
.long 0xD100001A, 0x00C234F2
.long 0xD100001B, 0x00C236F2
.long 0xD3B14032, 0x1802651A
.long 0xD0CC0030, 0x0001003E
.long 0xD100001C, 0x00C238F2
.long 0xD100001D, 0x00C23AF2
.long 0xD3B14034, 0x1802691C
.long 0xD0CC0030, 0x0001003E
.long 0xD100001E, 0x00C23CF2
.long 0xD100001F, 0x00C23EF2
.long 0xD3B14036, 0x18026D1E
.long 0xD3B24004, 0x18026110
.long 0xD3B24006, 0x18026512
.long 0xD3B24008, 0x18026914
.long 0xD3B2400A, 0x18026D16
.long 0xBEC41E3A
.long 0x7E600304
.long 0x7E620305
.long 0x7E640306
.long 0x7E660307
.long 0x7E680308
.long 0x7E6A0309
.long 0x7E6C030A
.long 0x7E6E030B
.long 0xE07C1000, 0x80033028
.long 0xE07C1010, 0x80033428
	;; [unrolled: 31-line block ×6, first 2 shown]
.long 0xBF800000
.long 0x7E8202FF, 0x80000000
.long 0xD1196A01, 0x00013B01
.long 0x92469D22
.long 0xD1340002, 0x00008D02
.long 0x92469D20
.long 0xD1340003, 0x00008D03
.long 0xD0C90046, 0x00002900
.long 0xD0C9004A, 0x00002B01
.long 0x86CA4A46
.long 0x924602FF, 0x00000100
.long 0xD135000E, 0x00008D00
.long 0x241C1C82
.long 0xD100000E, 0x012A1D41
.long 0xD9FE0000, 0x1000000E
	;; [unrolled: 1-line block ×3, first 2 shown]
.long 0x241E0082
.long 0xE05C1000, 0x800F180F
.long 0xE05C1010, 0x800F1C0F
	;; [unrolled: 1-line block ×9, first 2 shown]
.long 0x86CA4A46
.long 0x924602FF, 0x00000100
.long 0xD1350029, 0x00008D00
.long 0x24525282
.long 0xD1000029, 0x012A5341
.long 0x24540082
.long 0xD1FE0028, 0x020A0103
.long 0xD1000028, 0x012A5141
	;; [unrolled: 1-line block ×7, first 2 shown]
.long 0x86CA4A46
.long 0x924602FF, 0x00000100
.long 0xD135002C, 0x00008D00
.long 0x24585882
.long 0xD100002C, 0x012A5941
.long 0x245A0082
.long 0xD1FE002B, 0x020A0103
.long 0xD100002B, 0x012A5741
	;; [unrolled: 1-line block ×7, first 2 shown]
.long 0x86CA4A46
.long 0x924602FF, 0x00000100
.long 0xD135002F, 0x00008D00
.long 0x245E5E82
.long 0xD100002F, 0x012A5F41
.long 0x24800082
.long 0xD1FE002E, 0x020A0103
.long 0xD100002E, 0x012A5D41
.long 0x7E4003A4
.long 0x7E4203A8
	;; [unrolled: 1-line block ×66, first 2 shown]
.long 0xD0CC0030, 0x0001003E
.long 0xD1000018, 0x00C230F2
.long 0xD1000019, 0x00C232F2
.long 0xD3B14020, 0x18024118
.long 0xD0CC0030, 0x0001003E
.long 0xD100001A, 0x00C234F2
.long 0xD100001B, 0x00C236F2
.long 0xD3B14022, 0x1802451A
.long 0xD0CC0030, 0x0001003E
.long 0xD100001C, 0x00C238F2
.long 0xD100001D, 0x00C23AF2
.long 0xD3B14024, 0x1802491C
.long 0xD0CC0030, 0x0001003E
.long 0xD100001E, 0x00C23CF2
.long 0xD100001F, 0x00C23EF2
.long 0xD3B14026, 0x18024D1E
.long 0xD3B24004, 0x18024110
.long 0xD3B24006, 0x18024512
.long 0xD3B24008, 0x18024914
.long 0xD3B2400A, 0x18024D16
.long 0xBEC41E3A
.long 0x7E400304
.long 0x7E420305
.long 0x7E440306
.long 0x7E460307
.long 0x7E480308
.long 0x7E4A0309
.long 0x7E4C030A
.long 0x7E4E030B
.long 0xE07C1000, 0x8003200D
.long 0xE07C1010, 0x8003240D
.long 0xD0CC0030, 0x0001003E
.long 0xD1000018, 0x00C230F2
.long 0xD1000019, 0x00C232F2
.long 0xD3B14030, 0x18026118
.long 0xD0CC0030, 0x0001003E
.long 0xD100001A, 0x00C234F2
.long 0xD100001B, 0x00C236F2
.long 0xD3B14032, 0x1802651A
.long 0xD0CC0030, 0x0001003E
.long 0xD100001C, 0x00C238F2
.long 0xD100001D, 0x00C23AF2
.long 0xD3B14034, 0x1802691C
.long 0xD0CC0030, 0x0001003E
.long 0xD100001E, 0x00C23CF2
.long 0xD100001F, 0x00C23EF2
.long 0xD3B14036, 0x18026D1E
.long 0xD3B24004, 0x18026110
.long 0xD3B24006, 0x18026512
.long 0xD3B24008, 0x18026914
.long 0xD3B2400A, 0x18026D16
.long 0xBEC41E3A
.long 0x7E600304
.long 0x7E620305
.long 0x7E640306
.long 0x7E660307
.long 0x7E680308
.long 0x7E6A0309
.long 0x7E6C030A
.long 0x7E6E030B
.long 0xE07C1000, 0x80033028
.long 0xE07C1010, 0x80033428
	;; [unrolled: 31-line block ×4, first 2 shown]
.long 0xBF800000
.long 0xBF822675
.long 0x864614FF, 0x000000FF
.long 0x804709C1
.long 0xBF094702
	;; [unrolled: 1-line block ×6, first 2 shown]
.long 0x924815FF, 0x00000199
.long 0x8EC89048
.long 0x9247FF15, 0x0000999A
.long 0x80484847
.long 0x82498049
	;; [unrolled: 1-line block ×4, first 2 shown]
.long 0x9248FF47, 0x00000140
.long 0x80C64815
.long 0x80470AC1
	;; [unrolled: 1-line block ×6, first 2 shown]
.long 0xD1FE000E, 0x020A0102
.long 0xE05C1000, 0x8004180E
	;; [unrolled: 1-line block ×5, first 2 shown]
.long 0x241E1E82
.long 0xBF8CC07F
	;; [unrolled: 1-line block ×3, first 2 shown]
.long 0xD9FE0000, 0x2000000F
.long 0xD9FE0010, 0x2400000F
.long 0x24200082
.long 0xE05C1000, 0x800F2810
.long 0xE05C1010, 0x800F2C10
.long 0x8E468222
.long 0x80104610
.long 0x82118011
.long 0xE05C1000, 0x8004380E
.long 0xE05C1010, 0x80043C0E
.long 0x8E468222
.long 0x80104610
	;; [unrolled: 5-line block ×3, first 2 shown]
.long 0x82118011
.long 0xE05C1000, 0x8004580E
.long 0xE05C1010, 0x80045C0E
	;; [unrolled: 1-line block ×35, first 2 shown]
.long 0xBF800001
.long 0x0A606028
	;; [unrolled: 1-line block ×34, first 2 shown]
.long 0xD0CC0030, 0x0001003E
.long 0xD1000028, 0x00C250F2
	;; [unrolled: 1-line block ×28, first 2 shown]
.long 0xBEC41E3A
.long 0x7E600304
.long 0x7E620305
.long 0x7E640306
.long 0x7E660307
.long 0x7E680308
.long 0x7E6A0309
.long 0x7E6C030A
.long 0x7E6E030B
.long 0xE07C1000, 0x8003300D
.long 0xE07C1010, 0x8003340D
.long 0xBF8C0F75
.long 0xD0CC0030, 0x0001003E
.long 0xD1000028, 0x00C250F2
.long 0xD1000029, 0x00C252F2
.long 0xD3B14040, 0x18028128
.long 0xD0CC0030, 0x0001003E
.long 0xD100002A, 0x00C254F2
.long 0xD100002B, 0x00C256F2
.long 0xD3B14042, 0x1802852A
.long 0xD0CC0030, 0x0001003E
.long 0xD100002C, 0x00C258F2
.long 0xD100002D, 0x00C25AF2
.long 0xD3B14044, 0x1802892C
.long 0xD0CC0030, 0x0001003E
.long 0xD100002E, 0x00C25CF2
.long 0xD100002F, 0x00C25EF2
.long 0xD3B14046, 0x18028D2E
.long 0xD13B0040, 0x00005338
.long 0xD13B0041, 0x00005339
.long 0xD13B0042, 0x0000533A
.long 0xD13B0043, 0x0000533B
.long 0xD13B0044, 0x0000533C
.long 0xD13B0045, 0x0000533D
.long 0xD13B0046, 0x0000533E
.long 0xD13B0047, 0x0000533F
.long 0xD3B24004, 0x18028120
.long 0xD3B24006, 0x18028522
.long 0xD3B24008, 0x18028924
.long 0xD3B2400A, 0x18028D26
.long 0xBEC41E3A
.long 0x7E800304
.long 0x7E820305
.long 0x7E840306
.long 0x7E860307
.long 0x7E880308
.long 0x7E8A0309
.long 0x7E8C030A
.long 0x7E8E030B
.long 0x8E468220
.long 0x800C460C
.long 0x820D800D
.long 0xE07C1000, 0x8003400D
.long 0xE07C1010, 0x8003440D
.long 0xBF8C0F74
.long 0xD0CC0030, 0x0001003E
.long 0xD1000028, 0x00C250F2
.long 0xD1000029, 0x00C252F2
.long 0xD3B14050, 0x1802A128
.long 0xD0CC0030, 0x0001003E
.long 0xD100002A, 0x00C254F2
.long 0xD100002B, 0x00C256F2
.long 0xD3B14052, 0x1802A52A
.long 0xD0CC0030, 0x0001003E
.long 0xD100002C, 0x00C258F2
.long 0xD100002D, 0x00C25AF2
.long 0xD3B14054, 0x1802A92C
.long 0xD0CC0030, 0x0001003E
.long 0xD100002E, 0x00C25CF2
.long 0xD100002F, 0x00C25EF2
.long 0xD3B14056, 0x1802AD2E
.long 0xD13B0050, 0x00005348
.long 0xD13B0051, 0x00005349
.long 0xD13B0052, 0x0000534A
.long 0xD13B0053, 0x0000534B
.long 0xD13B0054, 0x0000534C
.long 0xD13B0055, 0x0000534D
.long 0xD13B0056, 0x0000534E
.long 0xD13B0057, 0x0000534F
.long 0xD3B24004, 0x1802A120
.long 0xD3B24006, 0x1802A522
.long 0xD3B24008, 0x1802A924
.long 0xD3B2400A, 0x1802AD26
.long 0xBEC41E3A
.long 0x7EA00304
.long 0x7EA20305
	;; [unrolled: 43-line block ×3, first 2 shown]
.long 0x7EC40306
.long 0x7EC60307
	;; [unrolled: 1-line block ×9, first 2 shown]
.long 0xE07C1000, 0x8003600D
.long 0xE07C1010, 0x8003640D
.long 0xBF800000
.long 0x9246FF22, 0x00000074
.long 0x80104610
.long 0x82118011
.long 0xE05C1000, 0x8004180E
.long 0xE05C1010, 0x80041C0E
	;; [unrolled: 1-line block ×4, first 2 shown]
.long 0x241E1E82
.long 0xD9FE0000, 0x2000000F
.long 0xD9FE0010, 0x2400000F
	;; [unrolled: 1-line block ×4, first 2 shown]
.long 0x8E468222
.long 0x80104610
.long 0x82118011
.long 0xE05C1000, 0x8004380E
.long 0xE05C1010, 0x80043C0E
.long 0x8E468222
.long 0x80104610
.long 0x82118011
.long 0xE05C1000, 0x8004480E
.long 0xE05C1010, 0x80044C0E
	;; [unrolled: 5-line block ×3, first 2 shown]
.long 0xD3D84030, 0x18000120
.long 0xD3D84031, 0x18000124
	;; [unrolled: 1-line block ×32, first 2 shown]
.long 0xBF800001
.long 0x0A606028
	;; [unrolled: 1-line block ×34, first 2 shown]
.long 0xD0CC0030, 0x0001003E
.long 0xD1000028, 0x00C250F2
	;; [unrolled: 1-line block ×28, first 2 shown]
.long 0xBEC41E3A
.long 0x7E600304
	;; [unrolled: 1-line block ×9, first 2 shown]
.long 0x9246FF20, 0x00000074
.long 0x800C460C
.long 0x820D800D
.long 0xE07C1000, 0x8003300D
.long 0xE07C1010, 0x8003340D
.long 0xBF8C0F75
.long 0xD0CC0030, 0x0001003E
.long 0xD1000028, 0x00C250F2
.long 0xD1000029, 0x00C252F2
.long 0xD3B14040, 0x18028128
.long 0xD0CC0030, 0x0001003E
.long 0xD100002A, 0x00C254F2
.long 0xD100002B, 0x00C256F2
.long 0xD3B14042, 0x1802852A
.long 0xD0CC0030, 0x0001003E
.long 0xD100002C, 0x00C258F2
.long 0xD100002D, 0x00C25AF2
.long 0xD3B14044, 0x1802892C
.long 0xD0CC0030, 0x0001003E
.long 0xD100002E, 0x00C25CF2
.long 0xD100002F, 0x00C25EF2
.long 0xD3B14046, 0x18028D2E
.long 0xD13B0040, 0x00005338
.long 0xD13B0041, 0x00005339
.long 0xD13B0042, 0x0000533A
.long 0xD13B0043, 0x0000533B
.long 0xD13B0044, 0x0000533C
.long 0xD13B0045, 0x0000533D
.long 0xD13B0046, 0x0000533E
.long 0xD13B0047, 0x0000533F
.long 0xD3B24004, 0x18028120
.long 0xD3B24006, 0x18028522
.long 0xD3B24008, 0x18028924
.long 0xD3B2400A, 0x18028D26
.long 0xBEC41E3A
.long 0x7E800304
.long 0x7E820305
.long 0x7E840306
.long 0x7E860307
.long 0x7E880308
.long 0x7E8A0309
.long 0x7E8C030A
.long 0x7E8E030B
.long 0x8E468220
.long 0x800C460C
.long 0x820D800D
.long 0xE07C1000, 0x8003400D
.long 0xE07C1010, 0x8003440D
.long 0xBF8C0F74
.long 0xD0CC0030, 0x0001003E
.long 0xD1000028, 0x00C250F2
.long 0xD1000029, 0x00C252F2
.long 0xD3B14050, 0x1802A128
.long 0xD0CC0030, 0x0001003E
.long 0xD100002A, 0x00C254F2
.long 0xD100002B, 0x00C256F2
.long 0xD3B14052, 0x1802A52A
.long 0xD0CC0030, 0x0001003E
.long 0xD100002C, 0x00C258F2
.long 0xD100002D, 0x00C25AF2
.long 0xD3B14054, 0x1802A92C
.long 0xD0CC0030, 0x0001003E
.long 0xD100002E, 0x00C25CF2
.long 0xD100002F, 0x00C25EF2
.long 0xD3B14056, 0x1802AD2E
.long 0xD13B0050, 0x00005348
.long 0xD13B0051, 0x00005349
.long 0xD13B0052, 0x0000534A
.long 0xD13B0053, 0x0000534B
.long 0xD13B0054, 0x0000534C
.long 0xD13B0055, 0x0000534D
.long 0xD13B0056, 0x0000534E
.long 0xD13B0057, 0x0000534F
.long 0xD3B24004, 0x1802A120
.long 0xD3B24006, 0x1802A522
.long 0xD3B24008, 0x1802A924
.long 0xD3B2400A, 0x1802AD26
.long 0xBEC41E3A
.long 0x7EA00304
.long 0x7EA20305
.long 0x7EA40306
.long 0x7EA60307
.long 0x7EA80308
.long 0x7EAA0309
.long 0x7EAC030A
.long 0x7EAE030B
.long 0x8E468220
	;; [unrolled: 43-line block ×3, first 2 shown]
.long 0x800C460C
.long 0x820D800D
.long 0xE07C1000, 0x8003600D
.long 0xE07C1010, 0x8003640D
.long 0xBF800000
.long 0x9246FF22, 0x00000074
.long 0x80104610
.long 0x82118011
.long 0xE05C1000, 0x8004180E
.long 0xE05C1010, 0x80041C0E
	;; [unrolled: 1-line block ×4, first 2 shown]
.long 0x241E1E82
.long 0xD9FE0000, 0x2000000F
.long 0xD9FE0010, 0x2400000F
	;; [unrolled: 1-line block ×4, first 2 shown]
.long 0x8E468222
.long 0x80104610
.long 0x82118011
.long 0xE05C1000, 0x8004380E
.long 0xE05C1010, 0x80043C0E
.long 0x8E468222
.long 0x80104610
.long 0x82118011
.long 0xE05C1000, 0x8004480E
.long 0xE05C1010, 0x80044C0E
	;; [unrolled: 5-line block ×3, first 2 shown]
.long 0xD3D84030, 0x18000140
.long 0xD3D84031, 0x18000144
	;; [unrolled: 1-line block ×32, first 2 shown]
.long 0xBF800001
.long 0x0A606028
	;; [unrolled: 1-line block ×34, first 2 shown]
.long 0xD0CC0030, 0x0001003E
.long 0xD1000028, 0x00C250F2
	;; [unrolled: 1-line block ×28, first 2 shown]
.long 0xBEC41E3A
.long 0x7E600304
	;; [unrolled: 1-line block ×9, first 2 shown]
.long 0x9246FF20, 0x00000074
.long 0x800C460C
.long 0x820D800D
.long 0xE07C1000, 0x8003300D
.long 0xE07C1010, 0x8003340D
.long 0xBF8C0F75
.long 0xD0CC0030, 0x0001003E
.long 0xD1000028, 0x00C250F2
.long 0xD1000029, 0x00C252F2
.long 0xD3B14040, 0x18028128
.long 0xD0CC0030, 0x0001003E
.long 0xD100002A, 0x00C254F2
.long 0xD100002B, 0x00C256F2
.long 0xD3B14042, 0x1802852A
.long 0xD0CC0030, 0x0001003E
.long 0xD100002C, 0x00C258F2
.long 0xD100002D, 0x00C25AF2
.long 0xD3B14044, 0x1802892C
.long 0xD0CC0030, 0x0001003E
.long 0xD100002E, 0x00C25CF2
.long 0xD100002F, 0x00C25EF2
.long 0xD3B14046, 0x18028D2E
.long 0xD13B0040, 0x00005338
.long 0xD13B0041, 0x00005339
.long 0xD13B0042, 0x0000533A
.long 0xD13B0043, 0x0000533B
.long 0xD13B0044, 0x0000533C
.long 0xD13B0045, 0x0000533D
.long 0xD13B0046, 0x0000533E
.long 0xD13B0047, 0x0000533F
.long 0xD3B24004, 0x18028120
.long 0xD3B24006, 0x18028522
.long 0xD3B24008, 0x18028924
.long 0xD3B2400A, 0x18028D26
.long 0xBEC41E3A
.long 0x7E800304
.long 0x7E820305
.long 0x7E840306
.long 0x7E860307
.long 0x7E880308
.long 0x7E8A0309
.long 0x7E8C030A
.long 0x7E8E030B
.long 0x8E468220
.long 0x800C460C
.long 0x820D800D
.long 0xE07C1000, 0x8003400D
.long 0xE07C1010, 0x8003440D
.long 0xBF8C0F74
.long 0xD0CC0030, 0x0001003E
.long 0xD1000028, 0x00C250F2
.long 0xD1000029, 0x00C252F2
.long 0xD3B14050, 0x1802A128
.long 0xD0CC0030, 0x0001003E
.long 0xD100002A, 0x00C254F2
.long 0xD100002B, 0x00C256F2
.long 0xD3B14052, 0x1802A52A
.long 0xD0CC0030, 0x0001003E
.long 0xD100002C, 0x00C258F2
.long 0xD100002D, 0x00C25AF2
.long 0xD3B14054, 0x1802A92C
.long 0xD0CC0030, 0x0001003E
.long 0xD100002E, 0x00C25CF2
.long 0xD100002F, 0x00C25EF2
.long 0xD3B14056, 0x1802AD2E
.long 0xD13B0050, 0x00005348
.long 0xD13B0051, 0x00005349
.long 0xD13B0052, 0x0000534A
.long 0xD13B0053, 0x0000534B
.long 0xD13B0054, 0x0000534C
.long 0xD13B0055, 0x0000534D
.long 0xD13B0056, 0x0000534E
.long 0xD13B0057, 0x0000534F
.long 0xD3B24004, 0x1802A120
.long 0xD3B24006, 0x1802A522
.long 0xD3B24008, 0x1802A924
.long 0xD3B2400A, 0x1802AD26
.long 0xBEC41E3A
.long 0x7EA00304
.long 0x7EA20305
.long 0x7EA40306
.long 0x7EA60307
.long 0x7EA80308
.long 0x7EAA0309
.long 0x7EAC030A
.long 0x7EAE030B
.long 0x8E468220
	;; [unrolled: 43-line block ×3, first 2 shown]
.long 0x800C460C
.long 0x820D800D
.long 0xE07C1000, 0x8003600D
.long 0xE07C1010, 0x8003640D
.long 0xBF800000
.long 0x9246FF22, 0x00000074
.long 0x80104610
.long 0x82118011
.long 0xE05C1000, 0x8004180E
.long 0xE05C1010, 0x80041C0E
	;; [unrolled: 1-line block ×4, first 2 shown]
.long 0x241E1E82
.long 0xD9FE0000, 0x2000000F
.long 0xD9FE0010, 0x2400000F
	;; [unrolled: 1-line block ×4, first 2 shown]
.long 0x8E468222
.long 0x80104610
.long 0x82118011
.long 0xE05C1000, 0x8004380E
.long 0xE05C1010, 0x80043C0E
.long 0x8E468222
.long 0x80104610
.long 0x82118011
.long 0xE05C1000, 0x8004480E
.long 0xE05C1010, 0x80044C0E
	;; [unrolled: 5-line block ×3, first 2 shown]
.long 0xD3D84030, 0x18000160
.long 0xD3D84031, 0x18000164
	;; [unrolled: 1-line block ×32, first 2 shown]
.long 0xBF800001
.long 0x0A606028
	;; [unrolled: 1-line block ×34, first 2 shown]
.long 0xD0CC0030, 0x0001003E
.long 0xD1000028, 0x00C250F2
	;; [unrolled: 1-line block ×28, first 2 shown]
.long 0xBEC41E3A
.long 0x7E600304
	;; [unrolled: 1-line block ×9, first 2 shown]
.long 0x9246FF20, 0x00000074
.long 0x800C460C
.long 0x820D800D
.long 0xE07C1000, 0x8003300D
.long 0xE07C1010, 0x8003340D
.long 0xBF8C0F75
.long 0xD0CC0030, 0x0001003E
.long 0xD1000028, 0x00C250F2
.long 0xD1000029, 0x00C252F2
.long 0xD3B14040, 0x18028128
.long 0xD0CC0030, 0x0001003E
.long 0xD100002A, 0x00C254F2
.long 0xD100002B, 0x00C256F2
.long 0xD3B14042, 0x1802852A
.long 0xD0CC0030, 0x0001003E
.long 0xD100002C, 0x00C258F2
.long 0xD100002D, 0x00C25AF2
.long 0xD3B14044, 0x1802892C
.long 0xD0CC0030, 0x0001003E
.long 0xD100002E, 0x00C25CF2
.long 0xD100002F, 0x00C25EF2
.long 0xD3B14046, 0x18028D2E
.long 0xD13B0040, 0x00005338
.long 0xD13B0041, 0x00005339
.long 0xD13B0042, 0x0000533A
.long 0xD13B0043, 0x0000533B
.long 0xD13B0044, 0x0000533C
.long 0xD13B0045, 0x0000533D
.long 0xD13B0046, 0x0000533E
.long 0xD13B0047, 0x0000533F
.long 0xD3B24004, 0x18028120
.long 0xD3B24006, 0x18028522
.long 0xD3B24008, 0x18028924
.long 0xD3B2400A, 0x18028D26
.long 0xBEC41E3A
.long 0x7E800304
.long 0x7E820305
.long 0x7E840306
.long 0x7E860307
.long 0x7E880308
.long 0x7E8A0309
.long 0x7E8C030A
.long 0x7E8E030B
.long 0x8E468220
.long 0x800C460C
.long 0x820D800D
.long 0xE07C1000, 0x8003400D
.long 0xE07C1010, 0x8003440D
.long 0xBF8C0F74
.long 0xD0CC0030, 0x0001003E
.long 0xD1000028, 0x00C250F2
.long 0xD1000029, 0x00C252F2
.long 0xD3B14050, 0x1802A128
.long 0xD0CC0030, 0x0001003E
.long 0xD100002A, 0x00C254F2
.long 0xD100002B, 0x00C256F2
.long 0xD3B14052, 0x1802A52A
.long 0xD0CC0030, 0x0001003E
.long 0xD100002C, 0x00C258F2
.long 0xD100002D, 0x00C25AF2
.long 0xD3B14054, 0x1802A92C
.long 0xD0CC0030, 0x0001003E
.long 0xD100002E, 0x00C25CF2
.long 0xD100002F, 0x00C25EF2
.long 0xD3B14056, 0x1802AD2E
.long 0xD13B0050, 0x00005348
.long 0xD13B0051, 0x00005349
.long 0xD13B0052, 0x0000534A
.long 0xD13B0053, 0x0000534B
.long 0xD13B0054, 0x0000534C
.long 0xD13B0055, 0x0000534D
.long 0xD13B0056, 0x0000534E
.long 0xD13B0057, 0x0000534F
.long 0xD3B24004, 0x1802A120
.long 0xD3B24006, 0x1802A522
.long 0xD3B24008, 0x1802A924
.long 0xD3B2400A, 0x1802AD26
.long 0xBEC41E3A
.long 0x7EA00304
.long 0x7EA20305
.long 0x7EA40306
.long 0x7EA60307
.long 0x7EA80308
.long 0x7EAA0309
.long 0x7EAC030A
.long 0x7EAE030B
.long 0x8E468220
	;; [unrolled: 43-line block ×3, first 2 shown]
.long 0x800C460C
.long 0x820D800D
.long 0xE07C1000, 0x8003600D
.long 0xE07C1010, 0x8003640D
.long 0xBF800000
.long 0x9246FF22, 0x00000074
.long 0x80104610
.long 0x82118011
.long 0xE05C1000, 0x8004180E
.long 0xE05C1010, 0x80041C0E
	;; [unrolled: 1-line block ×4, first 2 shown]
.long 0x241E1E82
.long 0xD9FE0000, 0x2000000F
.long 0xD9FE0010, 0x2400000F
	;; [unrolled: 1-line block ×4, first 2 shown]
.long 0x8E468222
.long 0x80104610
.long 0x82118011
.long 0xE05C1000, 0x8004380E
.long 0xE05C1010, 0x80043C0E
.long 0x8E468222
.long 0x80104610
.long 0x82118011
.long 0xE05C1000, 0x8004480E
.long 0xE05C1010, 0x80044C0E
	;; [unrolled: 5-line block ×3, first 2 shown]
.long 0xD3D84030, 0x18000180
.long 0xD3D84031, 0x18000184
	;; [unrolled: 1-line block ×32, first 2 shown]
.long 0xBF800001
.long 0x0A606028
	;; [unrolled: 1-line block ×34, first 2 shown]
.long 0xD0CC0030, 0x0001003E
.long 0xD1000028, 0x00C250F2
	;; [unrolled: 1-line block ×28, first 2 shown]
.long 0xBEC41E3A
.long 0x7E600304
	;; [unrolled: 1-line block ×9, first 2 shown]
.long 0x9246FF20, 0x00000074
.long 0x800C460C
.long 0x820D800D
.long 0xE07C1000, 0x8003300D
.long 0xE07C1010, 0x8003340D
.long 0xBF8C0F75
.long 0xD0CC0030, 0x0001003E
.long 0xD1000028, 0x00C250F2
.long 0xD1000029, 0x00C252F2
.long 0xD3B14040, 0x18028128
.long 0xD0CC0030, 0x0001003E
.long 0xD100002A, 0x00C254F2
.long 0xD100002B, 0x00C256F2
.long 0xD3B14042, 0x1802852A
.long 0xD0CC0030, 0x0001003E
.long 0xD100002C, 0x00C258F2
.long 0xD100002D, 0x00C25AF2
.long 0xD3B14044, 0x1802892C
.long 0xD0CC0030, 0x0001003E
.long 0xD100002E, 0x00C25CF2
.long 0xD100002F, 0x00C25EF2
.long 0xD3B14046, 0x18028D2E
.long 0xD13B0040, 0x00005338
.long 0xD13B0041, 0x00005339
.long 0xD13B0042, 0x0000533A
.long 0xD13B0043, 0x0000533B
.long 0xD13B0044, 0x0000533C
.long 0xD13B0045, 0x0000533D
.long 0xD13B0046, 0x0000533E
.long 0xD13B0047, 0x0000533F
.long 0xD3B24004, 0x18028120
.long 0xD3B24006, 0x18028522
.long 0xD3B24008, 0x18028924
.long 0xD3B2400A, 0x18028D26
.long 0xBEC41E3A
.long 0x7E800304
.long 0x7E820305
.long 0x7E840306
.long 0x7E860307
.long 0x7E880308
.long 0x7E8A0309
.long 0x7E8C030A
.long 0x7E8E030B
.long 0x8E468220
.long 0x800C460C
.long 0x820D800D
.long 0xE07C1000, 0x8003400D
.long 0xE07C1010, 0x8003440D
.long 0xBF8C0F74
.long 0xD0CC0030, 0x0001003E
.long 0xD1000028, 0x00C250F2
.long 0xD1000029, 0x00C252F2
.long 0xD3B14050, 0x1802A128
.long 0xD0CC0030, 0x0001003E
.long 0xD100002A, 0x00C254F2
.long 0xD100002B, 0x00C256F2
.long 0xD3B14052, 0x1802A52A
.long 0xD0CC0030, 0x0001003E
.long 0xD100002C, 0x00C258F2
.long 0xD100002D, 0x00C25AF2
.long 0xD3B14054, 0x1802A92C
.long 0xD0CC0030, 0x0001003E
.long 0xD100002E, 0x00C25CF2
.long 0xD100002F, 0x00C25EF2
.long 0xD3B14056, 0x1802AD2E
.long 0xD13B0050, 0x00005348
.long 0xD13B0051, 0x00005349
.long 0xD13B0052, 0x0000534A
.long 0xD13B0053, 0x0000534B
.long 0xD13B0054, 0x0000534C
.long 0xD13B0055, 0x0000534D
.long 0xD13B0056, 0x0000534E
.long 0xD13B0057, 0x0000534F
.long 0xD3B24004, 0x1802A120
.long 0xD3B24006, 0x1802A522
.long 0xD3B24008, 0x1802A924
.long 0xD3B2400A, 0x1802AD26
.long 0xBEC41E3A
.long 0x7EA00304
.long 0x7EA20305
.long 0x7EA40306
.long 0x7EA60307
.long 0x7EA80308
.long 0x7EAA0309
.long 0x7EAC030A
.long 0x7EAE030B
.long 0x8E468220
	;; [unrolled: 43-line block ×3, first 2 shown]
.long 0x800C460C
.long 0x820D800D
.long 0xE07C1000, 0x8003600D
.long 0xE07C1010, 0x8003640D
.long 0xBF800000
.long 0x9246FF22, 0x00000074
.long 0x80104610
.long 0x82118011
.long 0xE05C1000, 0x8004180E
.long 0xE05C1010, 0x80041C0E
	;; [unrolled: 1-line block ×4, first 2 shown]
.long 0x241E1E82
.long 0xD9FE0000, 0x2000000F
.long 0xD9FE0010, 0x2400000F
	;; [unrolled: 1-line block ×4, first 2 shown]
.long 0x8E468222
.long 0x80104610
.long 0x82118011
.long 0xE05C1000, 0x8004380E
.long 0xE05C1010, 0x80043C0E
.long 0x8E468222
.long 0x80104610
.long 0x82118011
.long 0xE05C1000, 0x8004480E
.long 0xE05C1010, 0x80044C0E
	;; [unrolled: 5-line block ×3, first 2 shown]
.long 0xD3D84030, 0x180001A0
.long 0xD3D84031, 0x180001A4
	;; [unrolled: 1-line block ×32, first 2 shown]
.long 0xBF800001
.long 0x0A606028
.long 0x0A626228
.long 0x0A646428
.long 0x0A666628
.long 0x0A686828
.long 0x0A6A6A28
.long 0x0A6C6C28
.long 0x0A6E6E28
.long 0x0A808028
.long 0x0A828228
.long 0x0A848428
.long 0x0A868628
.long 0x0A888828
.long 0x0A8A8A28
.long 0x0A8C8C28
.long 0x0A8E8E28
.long 0x0AA0A028
.long 0x0AA2A228
.long 0x0AA4A428
.long 0x0AA6A628
.long 0x0AA8A828
.long 0x0AAAAA28
.long 0x0AACAC28
.long 0x0AAEAE28
.long 0x0AC0C028
.long 0x0AC2C228
.long 0x0AC4C428
.long 0x0AC6C628
.long 0x0AC8C828
.long 0x0ACACA28
.long 0x0ACCCC28
.long 0x0ACECE28
.long 0xBF8C0076
.long 0xD0CC0030, 0x0001003E
.long 0xD1000028, 0x00C250F2
	;; [unrolled: 1-line block ×28, first 2 shown]
.long 0xBEC41E3A
.long 0x7E600304
	;; [unrolled: 1-line block ×9, first 2 shown]
.long 0x9246FF20, 0x00000074
.long 0x800C460C
.long 0x820D800D
.long 0xE07C1000, 0x8003300D
.long 0xE07C1010, 0x8003340D
.long 0xBF8C0F75
.long 0xD0CC0030, 0x0001003E
.long 0xD1000028, 0x00C250F2
.long 0xD1000029, 0x00C252F2
.long 0xD3B14040, 0x18028128
.long 0xD0CC0030, 0x0001003E
.long 0xD100002A, 0x00C254F2
.long 0xD100002B, 0x00C256F2
.long 0xD3B14042, 0x1802852A
.long 0xD0CC0030, 0x0001003E
.long 0xD100002C, 0x00C258F2
.long 0xD100002D, 0x00C25AF2
.long 0xD3B14044, 0x1802892C
.long 0xD0CC0030, 0x0001003E
.long 0xD100002E, 0x00C25CF2
.long 0xD100002F, 0x00C25EF2
.long 0xD3B14046, 0x18028D2E
.long 0xD13B0040, 0x00005338
.long 0xD13B0041, 0x00005339
.long 0xD13B0042, 0x0000533A
.long 0xD13B0043, 0x0000533B
.long 0xD13B0044, 0x0000533C
.long 0xD13B0045, 0x0000533D
.long 0xD13B0046, 0x0000533E
.long 0xD13B0047, 0x0000533F
.long 0xD3B24004, 0x18028120
.long 0xD3B24006, 0x18028522
.long 0xD3B24008, 0x18028924
.long 0xD3B2400A, 0x18028D26
.long 0xBEC41E3A
.long 0x7E800304
.long 0x7E820305
.long 0x7E840306
.long 0x7E860307
.long 0x7E880308
.long 0x7E8A0309
.long 0x7E8C030A
.long 0x7E8E030B
.long 0x8E468220
.long 0x800C460C
.long 0x820D800D
.long 0xE07C1000, 0x8003400D
.long 0xE07C1010, 0x8003440D
.long 0xBF8C0F74
.long 0xD0CC0030, 0x0001003E
.long 0xD1000028, 0x00C250F2
.long 0xD1000029, 0x00C252F2
.long 0xD3B14050, 0x1802A128
.long 0xD0CC0030, 0x0001003E
.long 0xD100002A, 0x00C254F2
.long 0xD100002B, 0x00C256F2
.long 0xD3B14052, 0x1802A52A
.long 0xD0CC0030, 0x0001003E
.long 0xD100002C, 0x00C258F2
.long 0xD100002D, 0x00C25AF2
.long 0xD3B14054, 0x1802A92C
.long 0xD0CC0030, 0x0001003E
.long 0xD100002E, 0x00C25CF2
.long 0xD100002F, 0x00C25EF2
.long 0xD3B14056, 0x1802AD2E
.long 0xD13B0050, 0x00005348
.long 0xD13B0051, 0x00005349
.long 0xD13B0052, 0x0000534A
.long 0xD13B0053, 0x0000534B
.long 0xD13B0054, 0x0000534C
.long 0xD13B0055, 0x0000534D
.long 0xD13B0056, 0x0000534E
.long 0xD13B0057, 0x0000534F
.long 0xD3B24004, 0x1802A120
.long 0xD3B24006, 0x1802A522
.long 0xD3B24008, 0x1802A924
.long 0xD3B2400A, 0x1802AD26
.long 0xBEC41E3A
.long 0x7EA00304
.long 0x7EA20305
.long 0x7EA40306
.long 0x7EA60307
.long 0x7EA80308
.long 0x7EAA0309
.long 0x7EAC030A
.long 0x7EAE030B
.long 0x8E468220
.long 0x800C460C
.long 0x820D800D
.long 0xE07C1000, 0x8003500D
.long 0xE07C1010, 0x8003540D
.long 0xBF8C0F73
.long 0xD0CC0030, 0x0001003E
.long 0xD1000028, 0x00C250F2
.long 0xD1000029, 0x00C252F2
.long 0xD3B14060, 0x1802C128
.long 0xD0CC0030, 0x0001003E
.long 0xD100002A, 0x00C254F2
.long 0xD100002B, 0x00C256F2
.long 0xD3B14062, 0x1802C52A
.long 0xD0CC0030, 0x0001003E
.long 0xD100002C, 0x00C258F2
.long 0xD100002D, 0x00C25AF2
.long 0xD3B14064, 0x1802C92C
.long 0xD0CC0030, 0x0001003E
.long 0xD100002E, 0x00C25CF2
.long 0xD100002F, 0x00C25EF2
.long 0xD3B14066, 0x1802CD2E
.long 0xD13B0060, 0x00005358
.long 0xD13B0061, 0x00005359
.long 0xD13B0062, 0x0000535A
.long 0xD13B0063, 0x0000535B
.long 0xD13B0064, 0x0000535C
.long 0xD13B0065, 0x0000535D
.long 0xD13B0066, 0x0000535E
.long 0xD13B0067, 0x0000535F
.long 0xD3B24004, 0x1802C120
.long 0xD3B24006, 0x1802C522
.long 0xD3B24008, 0x1802C924
.long 0xD3B2400A, 0x1802CD26
.long 0xBEC41E3A
.long 0x7EC00304
.long 0x7EC20305
.long 0x7EC40306
.long 0x7EC60307
.long 0x7EC80308
.long 0x7ECA0309
.long 0x7ECC030A
.long 0x7ECE030B
.long 0x8E468220
.long 0x800C460C
.long 0x820D800D
.long 0xE07C1000, 0x8003600D
.long 0xE07C1010, 0x8003640D
.long 0xBF800000
.long 0x9246FF22, 0x00000074
.long 0x80104610
.long 0x82118011
.long 0xE05C1000, 0x8004180E
.long 0xE05C1010, 0x80041C0E
	;; [unrolled: 1-line block ×4, first 2 shown]
.long 0x241E1E82
.long 0xD9FE0000, 0x2000000F
.long 0xD9FE0010, 0x2400000F
	;; [unrolled: 1-line block ×4, first 2 shown]
.long 0x8E468222
.long 0x80104610
.long 0x82118011
.long 0xE05C1000, 0x8004380E
.long 0xE05C1010, 0x80043C0E
.long 0x8E468222
.long 0x80104610
.long 0x82118011
.long 0xE05C1000, 0x8004480E
.long 0xE05C1010, 0x80044C0E
	;; [unrolled: 5-line block ×3, first 2 shown]
.long 0xD3D84030, 0x180001C0
.long 0xD3D84031, 0x180001C4
	;; [unrolled: 1-line block ×32, first 2 shown]
.long 0xBF800001
.long 0x0A606028
	;; [unrolled: 1-line block ×34, first 2 shown]
.long 0xD0CC0030, 0x0001003E
.long 0xD1000028, 0x00C250F2
	;; [unrolled: 1-line block ×28, first 2 shown]
.long 0xBEC41E3A
.long 0x7E600304
	;; [unrolled: 1-line block ×9, first 2 shown]
.long 0x9246FF20, 0x00000074
.long 0x800C460C
.long 0x820D800D
.long 0xE07C1000, 0x8003300D
.long 0xE07C1010, 0x8003340D
.long 0xBF8C0F75
.long 0xD0CC0030, 0x0001003E
.long 0xD1000028, 0x00C250F2
.long 0xD1000029, 0x00C252F2
.long 0xD3B14040, 0x18028128
.long 0xD0CC0030, 0x0001003E
.long 0xD100002A, 0x00C254F2
.long 0xD100002B, 0x00C256F2
.long 0xD3B14042, 0x1802852A
.long 0xD0CC0030, 0x0001003E
.long 0xD100002C, 0x00C258F2
.long 0xD100002D, 0x00C25AF2
.long 0xD3B14044, 0x1802892C
.long 0xD0CC0030, 0x0001003E
.long 0xD100002E, 0x00C25CF2
.long 0xD100002F, 0x00C25EF2
.long 0xD3B14046, 0x18028D2E
.long 0xD13B0040, 0x00005338
.long 0xD13B0041, 0x00005339
.long 0xD13B0042, 0x0000533A
.long 0xD13B0043, 0x0000533B
.long 0xD13B0044, 0x0000533C
.long 0xD13B0045, 0x0000533D
.long 0xD13B0046, 0x0000533E
.long 0xD13B0047, 0x0000533F
.long 0xD3B24004, 0x18028120
.long 0xD3B24006, 0x18028522
.long 0xD3B24008, 0x18028924
.long 0xD3B2400A, 0x18028D26
.long 0xBEC41E3A
.long 0x7E800304
.long 0x7E820305
.long 0x7E840306
.long 0x7E860307
.long 0x7E880308
.long 0x7E8A0309
.long 0x7E8C030A
.long 0x7E8E030B
.long 0x8E468220
.long 0x800C460C
.long 0x820D800D
.long 0xE07C1000, 0x8003400D
.long 0xE07C1010, 0x8003440D
.long 0xBF8C0F74
.long 0xD0CC0030, 0x0001003E
.long 0xD1000028, 0x00C250F2
.long 0xD1000029, 0x00C252F2
.long 0xD3B14050, 0x1802A128
.long 0xD0CC0030, 0x0001003E
.long 0xD100002A, 0x00C254F2
.long 0xD100002B, 0x00C256F2
.long 0xD3B14052, 0x1802A52A
.long 0xD0CC0030, 0x0001003E
.long 0xD100002C, 0x00C258F2
.long 0xD100002D, 0x00C25AF2
.long 0xD3B14054, 0x1802A92C
.long 0xD0CC0030, 0x0001003E
.long 0xD100002E, 0x00C25CF2
.long 0xD100002F, 0x00C25EF2
.long 0xD3B14056, 0x1802AD2E
.long 0xD13B0050, 0x00005348
.long 0xD13B0051, 0x00005349
.long 0xD13B0052, 0x0000534A
.long 0xD13B0053, 0x0000534B
.long 0xD13B0054, 0x0000534C
.long 0xD13B0055, 0x0000534D
.long 0xD13B0056, 0x0000534E
.long 0xD13B0057, 0x0000534F
.long 0xD3B24004, 0x1802A120
.long 0xD3B24006, 0x1802A522
.long 0xD3B24008, 0x1802A924
.long 0xD3B2400A, 0x1802AD26
.long 0xBEC41E3A
.long 0x7EA00304
.long 0x7EA20305
.long 0x7EA40306
.long 0x7EA60307
.long 0x7EA80308
.long 0x7EAA0309
.long 0x7EAC030A
.long 0x7EAE030B
.long 0x8E468220
	;; [unrolled: 43-line block ×3, first 2 shown]
.long 0x800C460C
.long 0x820D800D
.long 0xE07C1000, 0x8003600D
.long 0xE07C1010, 0x8003640D
.long 0xBF800000
.long 0x9246FF22, 0x00000074
.long 0x80104610
.long 0x82118011
.long 0xE05C1000, 0x8004180E
.long 0xE05C1010, 0x80041C0E
	;; [unrolled: 1-line block ×4, first 2 shown]
.long 0x241E1E82
.long 0xD9FE0000, 0x2000000F
.long 0xD9FE0010, 0x2400000F
	;; [unrolled: 1-line block ×4, first 2 shown]
.long 0x8E468222
.long 0x80104610
.long 0x82118011
.long 0xE05C1000, 0x8004380E
.long 0xE05C1010, 0x80043C0E
.long 0x8E468222
.long 0x80104610
.long 0x82118011
.long 0xE05C1000, 0x8004480E
.long 0xE05C1010, 0x80044C0E
	;; [unrolled: 5-line block ×3, first 2 shown]
.long 0xD3D84030, 0x180001E0
.long 0xD3D84031, 0x180001E4
	;; [unrolled: 1-line block ×32, first 2 shown]
.long 0xBF800001
.long 0x0A606028
	;; [unrolled: 1-line block ×34, first 2 shown]
.long 0xD0CC0030, 0x0001003E
.long 0xD1000028, 0x00C250F2
	;; [unrolled: 1-line block ×28, first 2 shown]
.long 0xBEC41E3A
.long 0x7E600304
	;; [unrolled: 1-line block ×9, first 2 shown]
.long 0x9246FF20, 0x00000074
.long 0x800C460C
.long 0x820D800D
.long 0xE07C1000, 0x8003300D
.long 0xE07C1010, 0x8003340D
.long 0xBF8C0F75
.long 0xD0CC0030, 0x0001003E
.long 0xD1000028, 0x00C250F2
.long 0xD1000029, 0x00C252F2
.long 0xD3B14040, 0x18028128
.long 0xD0CC0030, 0x0001003E
.long 0xD100002A, 0x00C254F2
.long 0xD100002B, 0x00C256F2
.long 0xD3B14042, 0x1802852A
.long 0xD0CC0030, 0x0001003E
.long 0xD100002C, 0x00C258F2
.long 0xD100002D, 0x00C25AF2
.long 0xD3B14044, 0x1802892C
.long 0xD0CC0030, 0x0001003E
.long 0xD100002E, 0x00C25CF2
.long 0xD100002F, 0x00C25EF2
.long 0xD3B14046, 0x18028D2E
.long 0xD13B0040, 0x00005338
.long 0xD13B0041, 0x00005339
.long 0xD13B0042, 0x0000533A
.long 0xD13B0043, 0x0000533B
.long 0xD13B0044, 0x0000533C
.long 0xD13B0045, 0x0000533D
.long 0xD13B0046, 0x0000533E
.long 0xD13B0047, 0x0000533F
.long 0xD3B24004, 0x18028120
.long 0xD3B24006, 0x18028522
.long 0xD3B24008, 0x18028924
.long 0xD3B2400A, 0x18028D26
.long 0xBEC41E3A
.long 0x7E800304
.long 0x7E820305
.long 0x7E840306
.long 0x7E860307
.long 0x7E880308
.long 0x7E8A0309
.long 0x7E8C030A
.long 0x7E8E030B
.long 0x8E468220
.long 0x800C460C
.long 0x820D800D
.long 0xE07C1000, 0x8003400D
.long 0xE07C1010, 0x8003440D
.long 0xBF8C0F74
.long 0xD0CC0030, 0x0001003E
.long 0xD1000028, 0x00C250F2
.long 0xD1000029, 0x00C252F2
.long 0xD3B14050, 0x1802A128
.long 0xD0CC0030, 0x0001003E
.long 0xD100002A, 0x00C254F2
.long 0xD100002B, 0x00C256F2
.long 0xD3B14052, 0x1802A52A
.long 0xD0CC0030, 0x0001003E
.long 0xD100002C, 0x00C258F2
.long 0xD100002D, 0x00C25AF2
.long 0xD3B14054, 0x1802A92C
.long 0xD0CC0030, 0x0001003E
.long 0xD100002E, 0x00C25CF2
.long 0xD100002F, 0x00C25EF2
.long 0xD3B14056, 0x1802AD2E
.long 0xD13B0050, 0x00005348
.long 0xD13B0051, 0x00005349
.long 0xD13B0052, 0x0000534A
.long 0xD13B0053, 0x0000534B
.long 0xD13B0054, 0x0000534C
.long 0xD13B0055, 0x0000534D
.long 0xD13B0056, 0x0000534E
.long 0xD13B0057, 0x0000534F
.long 0xD3B24004, 0x1802A120
.long 0xD3B24006, 0x1802A522
.long 0xD3B24008, 0x1802A924
.long 0xD3B2400A, 0x1802AD26
.long 0xBEC41E3A
.long 0x7EA00304
.long 0x7EA20305
.long 0x7EA40306
.long 0x7EA60307
.long 0x7EA80308
.long 0x7EAA0309
.long 0x7EAC030A
.long 0x7EAE030B
.long 0x8E468220
	;; [unrolled: 43-line block ×3, first 2 shown]
.long 0x800C460C
.long 0x820D800D
.long 0xE07C1000, 0x8003600D
.long 0xE07C1010, 0x8003640D
.long 0xBF800000
.long 0x9246FF22, 0x00000074
.long 0x80104610
.long 0x82118011
.long 0xE05C1000, 0x8004180E
.long 0xE05C1010, 0x80041C0E
	;; [unrolled: 1-line block ×4, first 2 shown]
.long 0x241E1E82
.long 0xD9FE0000, 0x2000000F
.long 0xD9FE0010, 0x2400000F
	;; [unrolled: 1-line block ×4, first 2 shown]
.long 0x8E468222
.long 0x80104610
.long 0x82118011
.long 0xE05C1000, 0x8004380E
.long 0xE05C1010, 0x80043C0E
.long 0x8E468222
.long 0x80104610
.long 0x82118011
.long 0xE05C1000, 0x8004480E
.long 0xE05C1010, 0x80044C0E
	;; [unrolled: 5-line block ×3, first 2 shown]
.long 0x7E600384
.long 0x7E620388
	;; [unrolled: 1-line block ×66, first 2 shown]
.long 0xD0CC0030, 0x0001003E
.long 0xD1000028, 0x00C250F2
	;; [unrolled: 1-line block ×28, first 2 shown]
.long 0xBEC41E3A
.long 0x7E600304
	;; [unrolled: 1-line block ×9, first 2 shown]
.long 0x9246FF20, 0x00000074
.long 0x800C460C
.long 0x820D800D
.long 0xE07C1000, 0x8003300D
.long 0xE07C1010, 0x8003340D
.long 0xBF8C0F75
.long 0xD0CC0030, 0x0001003E
.long 0xD1000028, 0x00C250F2
.long 0xD1000029, 0x00C252F2
.long 0xD3B14040, 0x18028128
.long 0xD0CC0030, 0x0001003E
.long 0xD100002A, 0x00C254F2
.long 0xD100002B, 0x00C256F2
.long 0xD3B14042, 0x1802852A
.long 0xD0CC0030, 0x0001003E
.long 0xD100002C, 0x00C258F2
.long 0xD100002D, 0x00C25AF2
.long 0xD3B14044, 0x1802892C
.long 0xD0CC0030, 0x0001003E
.long 0xD100002E, 0x00C25CF2
.long 0xD100002F, 0x00C25EF2
.long 0xD3B14046, 0x18028D2E
.long 0xD13B0040, 0x00005338
.long 0xD13B0041, 0x00005339
.long 0xD13B0042, 0x0000533A
.long 0xD13B0043, 0x0000533B
.long 0xD13B0044, 0x0000533C
.long 0xD13B0045, 0x0000533D
.long 0xD13B0046, 0x0000533E
.long 0xD13B0047, 0x0000533F
.long 0xD3B24004, 0x18028120
.long 0xD3B24006, 0x18028522
.long 0xD3B24008, 0x18028924
.long 0xD3B2400A, 0x18028D26
.long 0xBEC41E3A
.long 0x7E800304
.long 0x7E820305
.long 0x7E840306
.long 0x7E860307
.long 0x7E880308
.long 0x7E8A0309
.long 0x7E8C030A
.long 0x7E8E030B
.long 0x8E468220
.long 0x800C460C
.long 0x820D800D
.long 0xE07C1000, 0x8003400D
.long 0xE07C1010, 0x8003440D
.long 0xBF8C0F74
.long 0xD0CC0030, 0x0001003E
.long 0xD1000028, 0x00C250F2
.long 0xD1000029, 0x00C252F2
.long 0xD3B14050, 0x1802A128
.long 0xD0CC0030, 0x0001003E
.long 0xD100002A, 0x00C254F2
.long 0xD100002B, 0x00C256F2
.long 0xD3B14052, 0x1802A52A
.long 0xD0CC0030, 0x0001003E
.long 0xD100002C, 0x00C258F2
.long 0xD100002D, 0x00C25AF2
.long 0xD3B14054, 0x1802A92C
.long 0xD0CC0030, 0x0001003E
.long 0xD100002E, 0x00C25CF2
.long 0xD100002F, 0x00C25EF2
.long 0xD3B14056, 0x1802AD2E
.long 0xD13B0050, 0x00005348
.long 0xD13B0051, 0x00005349
.long 0xD13B0052, 0x0000534A
.long 0xD13B0053, 0x0000534B
.long 0xD13B0054, 0x0000534C
.long 0xD13B0055, 0x0000534D
.long 0xD13B0056, 0x0000534E
.long 0xD13B0057, 0x0000534F
.long 0xD3B24004, 0x1802A120
.long 0xD3B24006, 0x1802A522
.long 0xD3B24008, 0x1802A924
.long 0xD3B2400A, 0x1802AD26
.long 0xBEC41E3A
.long 0x7EA00304
.long 0x7EA20305
.long 0x7EA40306
.long 0x7EA60307
.long 0x7EA80308
.long 0x7EAA0309
.long 0x7EAC030A
.long 0x7EAE030B
.long 0x8E468220
	;; [unrolled: 43-line block ×3, first 2 shown]
.long 0x800C460C
.long 0x820D800D
.long 0xE07C1000, 0x8003600D
.long 0xE07C1010, 0x8003640D
.long 0xBF800000
.long 0x9246FF22, 0x00000074
.long 0x80104610
.long 0x82118011
.long 0xE05C1000, 0x8004180E
.long 0xE05C1010, 0x80041C0E
	;; [unrolled: 1-line block ×4, first 2 shown]
.long 0x241E1E82
.long 0xD9FE0000, 0x2000000F
.long 0xD9FE0010, 0x2400000F
	;; [unrolled: 1-line block ×4, first 2 shown]
.long 0x8E468222
.long 0x80104610
.long 0x82118011
.long 0xE05C1000, 0x8004380E
.long 0xE05C1010, 0x80043C0E
.long 0x8E468222
.long 0x80104610
.long 0x82118011
.long 0xE05C1000, 0x8004480E
.long 0xE05C1010, 0x80044C0E
	;; [unrolled: 5-line block ×3, first 2 shown]
.long 0x7E6003A4
.long 0x7E6203A8
	;; [unrolled: 1-line block ×66, first 2 shown]
.long 0xD0CC0030, 0x0001003E
.long 0xD1000028, 0x00C250F2
	;; [unrolled: 1-line block ×28, first 2 shown]
.long 0xBEC41E3A
.long 0x7E600304
	;; [unrolled: 1-line block ×9, first 2 shown]
.long 0x9246FF20, 0x00000074
.long 0x800C460C
.long 0x820D800D
.long 0xE07C1000, 0x8003300D
.long 0xE07C1010, 0x8003340D
.long 0xBF8C0F75
.long 0xD0CC0030, 0x0001003E
.long 0xD1000028, 0x00C250F2
.long 0xD1000029, 0x00C252F2
.long 0xD3B14040, 0x18028128
.long 0xD0CC0030, 0x0001003E
.long 0xD100002A, 0x00C254F2
.long 0xD100002B, 0x00C256F2
.long 0xD3B14042, 0x1802852A
.long 0xD0CC0030, 0x0001003E
.long 0xD100002C, 0x00C258F2
.long 0xD100002D, 0x00C25AF2
.long 0xD3B14044, 0x1802892C
.long 0xD0CC0030, 0x0001003E
.long 0xD100002E, 0x00C25CF2
.long 0xD100002F, 0x00C25EF2
.long 0xD3B14046, 0x18028D2E
.long 0xD13B0040, 0x00005338
.long 0xD13B0041, 0x00005339
.long 0xD13B0042, 0x0000533A
.long 0xD13B0043, 0x0000533B
.long 0xD13B0044, 0x0000533C
.long 0xD13B0045, 0x0000533D
.long 0xD13B0046, 0x0000533E
.long 0xD13B0047, 0x0000533F
.long 0xD3B24004, 0x18028120
.long 0xD3B24006, 0x18028522
.long 0xD3B24008, 0x18028924
.long 0xD3B2400A, 0x18028D26
.long 0xBEC41E3A
.long 0x7E800304
.long 0x7E820305
.long 0x7E840306
.long 0x7E860307
.long 0x7E880308
.long 0x7E8A0309
.long 0x7E8C030A
.long 0x7E8E030B
.long 0x8E468220
.long 0x800C460C
.long 0x820D800D
.long 0xE07C1000, 0x8003400D
.long 0xE07C1010, 0x8003440D
.long 0xBF8C0F74
.long 0xD0CC0030, 0x0001003E
.long 0xD1000028, 0x00C250F2
.long 0xD1000029, 0x00C252F2
.long 0xD3B14050, 0x1802A128
.long 0xD0CC0030, 0x0001003E
.long 0xD100002A, 0x00C254F2
.long 0xD100002B, 0x00C256F2
.long 0xD3B14052, 0x1802A52A
.long 0xD0CC0030, 0x0001003E
.long 0xD100002C, 0x00C258F2
.long 0xD100002D, 0x00C25AF2
.long 0xD3B14054, 0x1802A92C
.long 0xD0CC0030, 0x0001003E
.long 0xD100002E, 0x00C25CF2
.long 0xD100002F, 0x00C25EF2
.long 0xD3B14056, 0x1802AD2E
.long 0xD13B0050, 0x00005348
.long 0xD13B0051, 0x00005349
.long 0xD13B0052, 0x0000534A
.long 0xD13B0053, 0x0000534B
.long 0xD13B0054, 0x0000534C
.long 0xD13B0055, 0x0000534D
.long 0xD13B0056, 0x0000534E
.long 0xD13B0057, 0x0000534F
.long 0xD3B24004, 0x1802A120
.long 0xD3B24006, 0x1802A522
.long 0xD3B24008, 0x1802A924
.long 0xD3B2400A, 0x1802AD26
.long 0xBEC41E3A
.long 0x7EA00304
.long 0x7EA20305
.long 0x7EA40306
.long 0x7EA60307
.long 0x7EA80308
.long 0x7EAA0309
.long 0x7EAC030A
.long 0x7EAE030B
.long 0x8E468220
	;; [unrolled: 43-line block ×3, first 2 shown]
.long 0x800C460C
.long 0x820D800D
.long 0xE07C1000, 0x8003600D
.long 0xE07C1010, 0x8003640D
.long 0xBF800000
.long 0xBF8215B2
.long 0x7EB202FF, 0x80000000
.long 0xD0C90046, 0x00002900
	;; [unrolled: 1-line block ×3, first 2 shown]
.long 0x86CA4A46
.long 0xD1FE000D, 0x020A0102
.long 0xD100000D, 0x012A1B59
	;; [unrolled: 1-line block ×6, first 2 shown]
.long 0x241C1C82
.long 0xD100000E, 0x012A1D59
.long 0xBF8CC07F
.long 0xBF8A0000
.long 0xD9FE0000, 0x1800000E
.long 0xD9FE0010, 0x1C00000E
.long 0x241E0082
.long 0xE05C1000, 0x800F200F
.long 0xE05C1010, 0x800F240F
	;; [unrolled: 1-line block ×9, first 2 shown]
.long 0x86CA4A46
.long 0xD1FE0030, 0x020A0102
.long 0xD1000030, 0x012A6159
.long 0xE05C1000, 0x80043830
.long 0xE05C1010, 0x80043C30
.long 0x924602FF, 0x00000100
.long 0xD1350031, 0x00008D00
.long 0x24626282
.long 0xD1000031, 0x012A6359
.long 0x24640082
.long 0xD1FE0030, 0x020A0103
.long 0xD1000030, 0x012A6159
.long 0xD1196A01, 0x00010301
.long 0xD1340002, 0x00004502
.long 0xD1340003, 0x00004103
.long 0xD0C90046, 0x00002900
.long 0xD0C9004A, 0x00002B01
.long 0x86CA4A46
.long 0xD1FE0033, 0x020A0102
.long 0xD1000033, 0x012A6759
.long 0xE05C1000, 0x80044833
.long 0xE05C1010, 0x80044C33
.long 0x924602FF, 0x00000100
.long 0xD1350034, 0x00008D00
.long 0x24686882
.long 0xD1000034, 0x012A6959
.long 0x246A0082
.long 0xD1FE0033, 0x020A0103
.long 0xD1000033, 0x012A6759
.long 0xD1196A01, 0x00010301
.long 0xD1340002, 0x00004502
.long 0xD1340003, 0x00004103
.long 0xD0C90046, 0x00002900
.long 0xD0C9004A, 0x00002B01
	;; [unrolled: 17-line block ×3, first 2 shown]
.long 0xD3D8402D, 0x18000114
.long 0xD3D8402E, 0x18000118
	;; [unrolled: 1-line block ×27, first 2 shown]
.long 0xBF800001
.long 0x0A505028
.long 0x0A525228
.long 0x0A545428
.long 0x0A565628
.long 0x0A585828
.long 0x0A5A5A28
.long 0x0A5C5C28
.long 0x0A5E5E28
.long 0x0A808028
.long 0x0A828228
.long 0x0A848428
.long 0x0A868628
.long 0x0A888828
.long 0x0A8A8A28
.long 0x0A8C8C28
.long 0x0A8E8E28
.long 0x0AA0A028
.long 0x0AA2A228
.long 0x0AA4A428
.long 0x0AA6A628
.long 0x0AA8A828
.long 0x0AAAAA28
.long 0x0AACAC28
.long 0x0AAEAE28
.long 0x0AD0D028
.long 0x0AD2D228
.long 0x0AD4D428
.long 0x0AD6D628
.long 0x0AD8D828
.long 0x0ADADA28
.long 0x0ADCDC28
.long 0x0ADEDE28
.long 0xBF8C0000
.long 0xD0CC0030, 0x0001003E
.long 0xD1000020, 0x00C240F2
.long 0xD1000021, 0x00C242F2
.long 0xD3B14028, 0x18025120
.long 0xD0CC0030, 0x0001003E
.long 0xD1000022, 0x00C244F2
.long 0xD1000023, 0x00C246F2
.long 0xD3B1402A, 0x18025522
.long 0xD0CC0030, 0x0001003E
.long 0xD1000024, 0x00C248F2
.long 0xD1000025, 0x00C24AF2
.long 0xD3B1402C, 0x18025924
.long 0xD0CC0030, 0x0001003E
.long 0xD1000026, 0x00C24CF2
.long 0xD1000027, 0x00C24EF2
.long 0xD3B1402E, 0x18025D26
.long 0xD13B0028, 0x00005310
.long 0xD13B0029, 0x00005311
.long 0xD13B002A, 0x00005312
.long 0xD13B002B, 0x00005313
.long 0xD13B002C, 0x00005314
.long 0xD13B002D, 0x00005315
.long 0xD13B002E, 0x00005316
.long 0xD13B002F, 0x00005317
.long 0xD3B24004, 0x18025118
.long 0xD3B24006, 0x1802551A
.long 0xD3B24008, 0x1802591C
.long 0xD3B2400A, 0x18025D1E
.long 0xBEC41E3A
.long 0x7E500304
.long 0x7E520305
.long 0x7E540306
.long 0x7E560307
.long 0x7E580308
.long 0x7E5A0309
.long 0x7E5C030A
.long 0x7E5E030B
.long 0xE07C1000, 0x8003280D
.long 0xE07C1010, 0x80032C0D
.long 0xD0CC0030, 0x0001003E
.long 0xD1000020, 0x00C240F2
.long 0xD1000021, 0x00C242F2
.long 0xD3B14040, 0x18028120
.long 0xD0CC0030, 0x0001003E
.long 0xD1000022, 0x00C244F2
.long 0xD1000023, 0x00C246F2
.long 0xD3B14042, 0x18028522
.long 0xD0CC0030, 0x0001003E
.long 0xD1000024, 0x00C248F2
.long 0xD1000025, 0x00C24AF2
.long 0xD3B14044, 0x18028924
.long 0xD0CC0030, 0x0001003E
.long 0xD1000026, 0x00C24CF2
.long 0xD1000027, 0x00C24EF2
.long 0xD3B14046, 0x18028D26
.long 0xD13B0040, 0x00005338
.long 0xD13B0041, 0x00005339
.long 0xD13B0042, 0x0000533A
.long 0xD13B0043, 0x0000533B
.long 0xD13B0044, 0x0000533C
.long 0xD13B0045, 0x0000533D
.long 0xD13B0046, 0x0000533E
.long 0xD13B0047, 0x0000533F
.long 0xD3B24004, 0x18028118
.long 0xD3B24006, 0x1802851A
.long 0xD3B24008, 0x1802891C
.long 0xD3B2400A, 0x18028D1E
.long 0xBEC41E3A
.long 0x7E800304
.long 0x7E820305
.long 0x7E840306
.long 0x7E860307
.long 0x7E880308
.long 0x7E8A0309
.long 0x7E8C030A
.long 0x7E8E030B
.long 0xE07C1000, 0x80034030
.long 0xE07C1010, 0x80034430
.long 0xD0CC0030, 0x0001003E
.long 0xD1000020, 0x00C240F2
.long 0xD1000021, 0x00C242F2
.long 0xD3B14050, 0x1802A120
.long 0xD0CC0030, 0x0001003E
.long 0xD1000022, 0x00C244F2
.long 0xD1000023, 0x00C246F2
.long 0xD3B14052, 0x1802A522
.long 0xD0CC0030, 0x0001003E
.long 0xD1000024, 0x00C248F2
.long 0xD1000025, 0x00C24AF2
.long 0xD3B14054, 0x1802A924
.long 0xD0CC0030, 0x0001003E
.long 0xD1000026, 0x00C24CF2
.long 0xD1000027, 0x00C24EF2
.long 0xD3B14056, 0x1802AD26
.long 0xD13B0050, 0x00005348
.long 0xD13B0051, 0x00005349
.long 0xD13B0052, 0x0000534A
.long 0xD13B0053, 0x0000534B
.long 0xD13B0054, 0x0000534C
.long 0xD13B0055, 0x0000534D
.long 0xD13B0056, 0x0000534E
.long 0xD13B0057, 0x0000534F
.long 0xD3B24004, 0x1802A118
.long 0xD3B24006, 0x1802A51A
.long 0xD3B24008, 0x1802A91C
.long 0xD3B2400A, 0x1802AD1E
.long 0xBEC41E3A
.long 0x7EA00304
.long 0x7EA20305
.long 0x7EA40306
.long 0x7EA60307
.long 0x7EA80308
.long 0x7EAA0309
.long 0x7EAC030A
.long 0x7EAE030B
.long 0xE07C1000, 0x80035033
.long 0xE07C1010, 0x80035433
.long 0xD0CC0030, 0x0001003E
.long 0xD1000020, 0x00C240F2
.long 0xD1000021, 0x00C242F2
.long 0xD3B14068, 0x1802D120
.long 0xD0CC0030, 0x0001003E
.long 0xD1000022, 0x00C244F2
.long 0xD1000023, 0x00C246F2
.long 0xD3B1406A, 0x1802D522
.long 0xD0CC0030, 0x0001003E
.long 0xD1000024, 0x00C248F2
.long 0xD1000025, 0x00C24AF2
.long 0xD3B1406C, 0x1802D924
.long 0xD0CC0030, 0x0001003E
.long 0xD1000026, 0x00C24CF2
.long 0xD1000027, 0x00C24EF2
.long 0xD3B1406E, 0x1802DD26
.long 0xD13B0068, 0x00005360
.long 0xD13B0069, 0x00005361
.long 0xD13B006A, 0x00005362
.long 0xD13B006B, 0x00005363
.long 0xD13B006C, 0x00005364
.long 0xD13B006D, 0x00005365
.long 0xD13B006E, 0x00005366
.long 0xD13B006F, 0x00005367
.long 0xD3B24004, 0x1802D118
.long 0xD3B24006, 0x1802D51A
.long 0xD3B24008, 0x1802D91C
.long 0xD3B2400A, 0x1802DD1E
.long 0xBEC41E3A
.long 0x7ED00304
.long 0x7ED20305
.long 0x7ED40306
.long 0x7ED60307
.long 0x7ED80308
.long 0x7EDA0309
.long 0x7EDC030A
.long 0x7EDE030B
.long 0xE07C1000, 0x80036836
.long 0xE07C1010, 0x80036C36
.long 0xBF800000
.long 0x7EB202FF, 0x80000000
.long 0xD1196A01, 0x00013B01
.long 0x92469D22
.long 0xD1340002, 0x00008D02
.long 0x92469D20
.long 0xD1340003, 0x00008D03
.long 0xD0C90046, 0x00002900
	;; [unrolled: 1-line block ×3, first 2 shown]
.long 0x86CA4A46
.long 0xD1FE000D, 0x020A0102
.long 0xD100000D, 0x012A1B59
	;; [unrolled: 1-line block ×6, first 2 shown]
.long 0x241C1C82
.long 0xD100000E, 0x012A1D59
.long 0xD9FE0000, 0x1800000E
	;; [unrolled: 1-line block ×3, first 2 shown]
.long 0x241E0082
.long 0xE05C1000, 0x800F200F
.long 0xE05C1010, 0x800F240F
	;; [unrolled: 1-line block ×9, first 2 shown]
.long 0x86CA4A46
.long 0xD1FE0030, 0x020A0102
.long 0xD1000030, 0x012A6159
.long 0xE05C1000, 0x80043830
.long 0xE05C1010, 0x80043C30
.long 0x924602FF, 0x00000100
.long 0xD1350031, 0x00008D00
.long 0x24626282
.long 0xD1000031, 0x012A6359
.long 0x24640082
.long 0xD1FE0030, 0x020A0103
.long 0xD1000030, 0x012A6159
.long 0xD1196A01, 0x00010301
.long 0xD1340002, 0x00004502
.long 0xD1340003, 0x00004103
.long 0xD0C90046, 0x00002900
.long 0xD0C9004A, 0x00002B01
.long 0x86CA4A46
.long 0xD1FE0033, 0x020A0102
.long 0xD1000033, 0x012A6759
.long 0xE05C1000, 0x80044833
.long 0xE05C1010, 0x80044C33
.long 0x924602FF, 0x00000100
.long 0xD1350034, 0x00008D00
.long 0x24686882
.long 0xD1000034, 0x012A6959
.long 0x246A0082
.long 0xD1FE0033, 0x020A0103
.long 0xD1000033, 0x012A6759
.long 0xD1196A01, 0x00010301
.long 0xD1340002, 0x00004502
.long 0xD1340003, 0x00004103
.long 0xD0C90046, 0x00002900
.long 0xD0C9004A, 0x00002B01
	;; [unrolled: 17-line block ×3, first 2 shown]
.long 0xD3D8402D, 0x18000134
.long 0xD3D8402E, 0x18000138
	;; [unrolled: 1-line block ×27, first 2 shown]
.long 0xBF800001
.long 0x0A505028
	;; [unrolled: 1-line block ×34, first 2 shown]
.long 0xD0CC0030, 0x0001003E
.long 0xD1000020, 0x00C240F2
.long 0xD1000021, 0x00C242F2
.long 0xD3B14028, 0x18025120
.long 0xD0CC0030, 0x0001003E
.long 0xD1000022, 0x00C244F2
.long 0xD1000023, 0x00C246F2
.long 0xD3B1402A, 0x18025522
.long 0xD0CC0030, 0x0001003E
.long 0xD1000024, 0x00C248F2
.long 0xD1000025, 0x00C24AF2
.long 0xD3B1402C, 0x18025924
.long 0xD0CC0030, 0x0001003E
.long 0xD1000026, 0x00C24CF2
.long 0xD1000027, 0x00C24EF2
.long 0xD3B1402E, 0x18025D26
.long 0xD13B0028, 0x00005310
.long 0xD13B0029, 0x00005311
.long 0xD13B002A, 0x00005312
.long 0xD13B002B, 0x00005313
.long 0xD13B002C, 0x00005314
.long 0xD13B002D, 0x00005315
.long 0xD13B002E, 0x00005316
.long 0xD13B002F, 0x00005317
.long 0xD3B24004, 0x18025118
.long 0xD3B24006, 0x1802551A
.long 0xD3B24008, 0x1802591C
.long 0xD3B2400A, 0x18025D1E
.long 0xBEC41E3A
.long 0x7E500304
.long 0x7E520305
.long 0x7E540306
.long 0x7E560307
.long 0x7E580308
.long 0x7E5A0309
.long 0x7E5C030A
.long 0x7E5E030B
.long 0xE07C1000, 0x8003280D
.long 0xE07C1010, 0x80032C0D
.long 0xD0CC0030, 0x0001003E
.long 0xD1000020, 0x00C240F2
.long 0xD1000021, 0x00C242F2
.long 0xD3B14040, 0x18028120
.long 0xD0CC0030, 0x0001003E
.long 0xD1000022, 0x00C244F2
.long 0xD1000023, 0x00C246F2
.long 0xD3B14042, 0x18028522
.long 0xD0CC0030, 0x0001003E
.long 0xD1000024, 0x00C248F2
.long 0xD1000025, 0x00C24AF2
.long 0xD3B14044, 0x18028924
.long 0xD0CC0030, 0x0001003E
.long 0xD1000026, 0x00C24CF2
.long 0xD1000027, 0x00C24EF2
.long 0xD3B14046, 0x18028D26
.long 0xD13B0040, 0x00005338
.long 0xD13B0041, 0x00005339
.long 0xD13B0042, 0x0000533A
.long 0xD13B0043, 0x0000533B
.long 0xD13B0044, 0x0000533C
.long 0xD13B0045, 0x0000533D
.long 0xD13B0046, 0x0000533E
.long 0xD13B0047, 0x0000533F
.long 0xD3B24004, 0x18028118
.long 0xD3B24006, 0x1802851A
.long 0xD3B24008, 0x1802891C
.long 0xD3B2400A, 0x18028D1E
.long 0xBEC41E3A
.long 0x7E800304
.long 0x7E820305
.long 0x7E840306
.long 0x7E860307
.long 0x7E880308
.long 0x7E8A0309
.long 0x7E8C030A
.long 0x7E8E030B
.long 0xE07C1000, 0x80034030
.long 0xE07C1010, 0x80034430
	;; [unrolled: 39-line block ×4, first 2 shown]
.long 0xBF800000
.long 0x7EB202FF, 0x80000000
.long 0xD1196A01, 0x00013B01
.long 0x92469D22
.long 0xD1340002, 0x00008D02
.long 0x92469D20
.long 0xD1340003, 0x00008D03
.long 0xD0C90046, 0x00002900
	;; [unrolled: 1-line block ×3, first 2 shown]
.long 0x86CA4A46
.long 0xD1FE000D, 0x020A0102
.long 0xD100000D, 0x012A1B59
	;; [unrolled: 1-line block ×6, first 2 shown]
.long 0x241C1C82
.long 0xD100000E, 0x012A1D59
.long 0xD9FE0000, 0x1800000E
	;; [unrolled: 1-line block ×3, first 2 shown]
.long 0x241E0082
.long 0xE05C1000, 0x800F200F
.long 0xE05C1010, 0x800F240F
	;; [unrolled: 1-line block ×9, first 2 shown]
.long 0x86CA4A46
.long 0xD1FE0030, 0x020A0102
.long 0xD1000030, 0x012A6159
.long 0xE05C1000, 0x80043830
.long 0xE05C1010, 0x80043C30
.long 0x924602FF, 0x00000100
.long 0xD1350031, 0x00008D00
.long 0x24626282
.long 0xD1000031, 0x012A6359
.long 0x24640082
.long 0xD1FE0030, 0x020A0103
.long 0xD1000030, 0x012A6159
.long 0xD1196A01, 0x00010301
.long 0xD1340002, 0x00004502
.long 0xD1340003, 0x00004103
.long 0xD0C90046, 0x00002900
.long 0xD0C9004A, 0x00002B01
.long 0x86CA4A46
.long 0xD1FE0033, 0x020A0102
.long 0xD1000033, 0x012A6759
.long 0xE05C1000, 0x80044833
.long 0xE05C1010, 0x80044C33
.long 0x924602FF, 0x00000100
.long 0xD1350034, 0x00008D00
.long 0x24686882
.long 0xD1000034, 0x012A6959
.long 0x246A0082
.long 0xD1FE0033, 0x020A0103
.long 0xD1000033, 0x012A6759
.long 0xD1196A01, 0x00010301
.long 0xD1340002, 0x00004502
.long 0xD1340003, 0x00004103
.long 0xD0C90046, 0x00002900
.long 0xD0C9004A, 0x00002B01
	;; [unrolled: 17-line block ×3, first 2 shown]
.long 0xD3D8402D, 0x18000154
.long 0xD3D8402E, 0x18000158
	;; [unrolled: 1-line block ×27, first 2 shown]
.long 0xBF800001
.long 0x0A505028
	;; [unrolled: 1-line block ×34, first 2 shown]
.long 0xD0CC0030, 0x0001003E
.long 0xD1000020, 0x00C240F2
.long 0xD1000021, 0x00C242F2
.long 0xD3B14028, 0x18025120
.long 0xD0CC0030, 0x0001003E
.long 0xD1000022, 0x00C244F2
.long 0xD1000023, 0x00C246F2
.long 0xD3B1402A, 0x18025522
.long 0xD0CC0030, 0x0001003E
.long 0xD1000024, 0x00C248F2
.long 0xD1000025, 0x00C24AF2
.long 0xD3B1402C, 0x18025924
.long 0xD0CC0030, 0x0001003E
.long 0xD1000026, 0x00C24CF2
.long 0xD1000027, 0x00C24EF2
.long 0xD3B1402E, 0x18025D26
.long 0xD13B0028, 0x00005310
.long 0xD13B0029, 0x00005311
.long 0xD13B002A, 0x00005312
.long 0xD13B002B, 0x00005313
.long 0xD13B002C, 0x00005314
.long 0xD13B002D, 0x00005315
.long 0xD13B002E, 0x00005316
.long 0xD13B002F, 0x00005317
.long 0xD3B24004, 0x18025118
.long 0xD3B24006, 0x1802551A
.long 0xD3B24008, 0x1802591C
.long 0xD3B2400A, 0x18025D1E
.long 0xBEC41E3A
.long 0x7E500304
.long 0x7E520305
.long 0x7E540306
.long 0x7E560307
.long 0x7E580308
.long 0x7E5A0309
.long 0x7E5C030A
.long 0x7E5E030B
.long 0xE07C1000, 0x8003280D
.long 0xE07C1010, 0x80032C0D
.long 0xD0CC0030, 0x0001003E
.long 0xD1000020, 0x00C240F2
.long 0xD1000021, 0x00C242F2
.long 0xD3B14040, 0x18028120
.long 0xD0CC0030, 0x0001003E
.long 0xD1000022, 0x00C244F2
.long 0xD1000023, 0x00C246F2
.long 0xD3B14042, 0x18028522
.long 0xD0CC0030, 0x0001003E
.long 0xD1000024, 0x00C248F2
.long 0xD1000025, 0x00C24AF2
.long 0xD3B14044, 0x18028924
.long 0xD0CC0030, 0x0001003E
.long 0xD1000026, 0x00C24CF2
.long 0xD1000027, 0x00C24EF2
.long 0xD3B14046, 0x18028D26
.long 0xD13B0040, 0x00005338
.long 0xD13B0041, 0x00005339
.long 0xD13B0042, 0x0000533A
.long 0xD13B0043, 0x0000533B
.long 0xD13B0044, 0x0000533C
.long 0xD13B0045, 0x0000533D
.long 0xD13B0046, 0x0000533E
.long 0xD13B0047, 0x0000533F
.long 0xD3B24004, 0x18028118
.long 0xD3B24006, 0x1802851A
.long 0xD3B24008, 0x1802891C
.long 0xD3B2400A, 0x18028D1E
.long 0xBEC41E3A
.long 0x7E800304
.long 0x7E820305
.long 0x7E840306
.long 0x7E860307
.long 0x7E880308
.long 0x7E8A0309
.long 0x7E8C030A
.long 0x7E8E030B
.long 0xE07C1000, 0x80034030
.long 0xE07C1010, 0x80034430
	;; [unrolled: 39-line block ×4, first 2 shown]
.long 0xBF800000
.long 0x7EB202FF, 0x80000000
.long 0xD1196A01, 0x00013B01
.long 0x92469D22
.long 0xD1340002, 0x00008D02
.long 0x92469D20
.long 0xD1340003, 0x00008D03
.long 0xD0C90046, 0x00002900
.long 0xD0C9004A, 0x00002B01
.long 0x86CA4A46
.long 0xD1FE000D, 0x020A0102
.long 0xD100000D, 0x012A1B59
	;; [unrolled: 1-line block ×6, first 2 shown]
.long 0x241C1C82
.long 0xD100000E, 0x012A1D59
.long 0xD9FE0000, 0x1800000E
	;; [unrolled: 1-line block ×3, first 2 shown]
.long 0x241E0082
.long 0xE05C1000, 0x800F200F
.long 0xE05C1010, 0x800F240F
	;; [unrolled: 1-line block ×9, first 2 shown]
.long 0x86CA4A46
.long 0xD1FE0030, 0x020A0102
.long 0xD1000030, 0x012A6159
.long 0xE05C1000, 0x80043830
.long 0xE05C1010, 0x80043C30
.long 0x924602FF, 0x00000100
.long 0xD1350031, 0x00008D00
.long 0x24626282
.long 0xD1000031, 0x012A6359
.long 0x24640082
.long 0xD1FE0030, 0x020A0103
.long 0xD1000030, 0x012A6159
.long 0xD1196A01, 0x00010301
.long 0xD1340002, 0x00004502
.long 0xD1340003, 0x00004103
.long 0xD0C90046, 0x00002900
.long 0xD0C9004A, 0x00002B01
.long 0x86CA4A46
.long 0xD1FE0033, 0x020A0102
.long 0xD1000033, 0x012A6759
.long 0xE05C1000, 0x80044833
.long 0xE05C1010, 0x80044C33
.long 0x924602FF, 0x00000100
.long 0xD1350034, 0x00008D00
.long 0x24686882
.long 0xD1000034, 0x012A6959
.long 0x246A0082
.long 0xD1FE0033, 0x020A0103
.long 0xD1000033, 0x012A6759
.long 0xD1196A01, 0x00010301
.long 0xD1340002, 0x00004502
.long 0xD1340003, 0x00004103
.long 0xD0C90046, 0x00002900
.long 0xD0C9004A, 0x00002B01
	;; [unrolled: 17-line block ×3, first 2 shown]
.long 0xD3D8402D, 0x18000174
.long 0xD3D8402E, 0x18000178
	;; [unrolled: 1-line block ×27, first 2 shown]
.long 0xBF800001
.long 0x0A505028
	;; [unrolled: 1-line block ×34, first 2 shown]
.long 0xD0CC0030, 0x0001003E
.long 0xD1000020, 0x00C240F2
.long 0xD1000021, 0x00C242F2
.long 0xD3B14028, 0x18025120
.long 0xD0CC0030, 0x0001003E
.long 0xD1000022, 0x00C244F2
.long 0xD1000023, 0x00C246F2
.long 0xD3B1402A, 0x18025522
.long 0xD0CC0030, 0x0001003E
.long 0xD1000024, 0x00C248F2
.long 0xD1000025, 0x00C24AF2
.long 0xD3B1402C, 0x18025924
.long 0xD0CC0030, 0x0001003E
.long 0xD1000026, 0x00C24CF2
.long 0xD1000027, 0x00C24EF2
.long 0xD3B1402E, 0x18025D26
.long 0xD13B0028, 0x00005310
.long 0xD13B0029, 0x00005311
.long 0xD13B002A, 0x00005312
.long 0xD13B002B, 0x00005313
.long 0xD13B002C, 0x00005314
.long 0xD13B002D, 0x00005315
.long 0xD13B002E, 0x00005316
.long 0xD13B002F, 0x00005317
.long 0xD3B24004, 0x18025118
.long 0xD3B24006, 0x1802551A
.long 0xD3B24008, 0x1802591C
.long 0xD3B2400A, 0x18025D1E
.long 0xBEC41E3A
.long 0x7E500304
.long 0x7E520305
.long 0x7E540306
.long 0x7E560307
.long 0x7E580308
.long 0x7E5A0309
.long 0x7E5C030A
.long 0x7E5E030B
.long 0xE07C1000, 0x8003280D
.long 0xE07C1010, 0x80032C0D
.long 0xD0CC0030, 0x0001003E
.long 0xD1000020, 0x00C240F2
.long 0xD1000021, 0x00C242F2
.long 0xD3B14040, 0x18028120
.long 0xD0CC0030, 0x0001003E
.long 0xD1000022, 0x00C244F2
.long 0xD1000023, 0x00C246F2
.long 0xD3B14042, 0x18028522
.long 0xD0CC0030, 0x0001003E
.long 0xD1000024, 0x00C248F2
.long 0xD1000025, 0x00C24AF2
.long 0xD3B14044, 0x18028924
.long 0xD0CC0030, 0x0001003E
.long 0xD1000026, 0x00C24CF2
.long 0xD1000027, 0x00C24EF2
.long 0xD3B14046, 0x18028D26
.long 0xD13B0040, 0x00005338
.long 0xD13B0041, 0x00005339
.long 0xD13B0042, 0x0000533A
.long 0xD13B0043, 0x0000533B
.long 0xD13B0044, 0x0000533C
.long 0xD13B0045, 0x0000533D
.long 0xD13B0046, 0x0000533E
.long 0xD13B0047, 0x0000533F
.long 0xD3B24004, 0x18028118
.long 0xD3B24006, 0x1802851A
.long 0xD3B24008, 0x1802891C
.long 0xD3B2400A, 0x18028D1E
.long 0xBEC41E3A
.long 0x7E800304
.long 0x7E820305
.long 0x7E840306
.long 0x7E860307
.long 0x7E880308
.long 0x7E8A0309
.long 0x7E8C030A
.long 0x7E8E030B
.long 0xE07C1000, 0x80034030
.long 0xE07C1010, 0x80034430
	;; [unrolled: 39-line block ×4, first 2 shown]
.long 0xBF800000
.long 0x7EB202FF, 0x80000000
.long 0xD1196A01, 0x00013B01
.long 0x92469D22
.long 0xD1340002, 0x00008D02
.long 0x92469D20
.long 0xD1340003, 0x00008D03
.long 0xD0C90046, 0x00002900
	;; [unrolled: 1-line block ×3, first 2 shown]
.long 0x86CA4A46
.long 0xD1FE000D, 0x020A0102
.long 0xD100000D, 0x012A1B59
	;; [unrolled: 1-line block ×6, first 2 shown]
.long 0x241C1C82
.long 0xD100000E, 0x012A1D59
.long 0xD9FE0000, 0x1800000E
	;; [unrolled: 1-line block ×3, first 2 shown]
.long 0x241E0082
.long 0xE05C1000, 0x800F200F
.long 0xE05C1010, 0x800F240F
	;; [unrolled: 1-line block ×9, first 2 shown]
.long 0x86CA4A46
.long 0xD1FE0030, 0x020A0102
.long 0xD1000030, 0x012A6159
.long 0xE05C1000, 0x80043830
.long 0xE05C1010, 0x80043C30
.long 0x924602FF, 0x00000100
.long 0xD1350031, 0x00008D00
.long 0x24626282
.long 0xD1000031, 0x012A6359
.long 0x24640082
.long 0xD1FE0030, 0x020A0103
.long 0xD1000030, 0x012A6159
.long 0xD1196A01, 0x00010301
.long 0xD1340002, 0x00004502
.long 0xD1340003, 0x00004103
.long 0xD0C90046, 0x00002900
.long 0xD0C9004A, 0x00002B01
.long 0x86CA4A46
.long 0xD1FE0033, 0x020A0102
.long 0xD1000033, 0x012A6759
.long 0xE05C1000, 0x80044833
.long 0xE05C1010, 0x80044C33
.long 0x924602FF, 0x00000100
.long 0xD1350034, 0x00008D00
.long 0x24686882
.long 0xD1000034, 0x012A6959
.long 0x246A0082
.long 0xD1FE0033, 0x020A0103
.long 0xD1000033, 0x012A6759
.long 0xD1196A01, 0x00010301
.long 0xD1340002, 0x00004502
.long 0xD1340003, 0x00004103
.long 0xD0C90046, 0x00002900
.long 0xD0C9004A, 0x00002B01
	;; [unrolled: 17-line block ×3, first 2 shown]
.long 0xD3D8402D, 0x18000194
.long 0xD3D8402E, 0x18000198
	;; [unrolled: 1-line block ×27, first 2 shown]
.long 0xBF800001
.long 0x0A505028
	;; [unrolled: 1-line block ×34, first 2 shown]
.long 0xD0CC0030, 0x0001003E
.long 0xD1000020, 0x00C240F2
.long 0xD1000021, 0x00C242F2
.long 0xD3B14028, 0x18025120
.long 0xD0CC0030, 0x0001003E
.long 0xD1000022, 0x00C244F2
.long 0xD1000023, 0x00C246F2
.long 0xD3B1402A, 0x18025522
.long 0xD0CC0030, 0x0001003E
.long 0xD1000024, 0x00C248F2
.long 0xD1000025, 0x00C24AF2
.long 0xD3B1402C, 0x18025924
.long 0xD0CC0030, 0x0001003E
.long 0xD1000026, 0x00C24CF2
.long 0xD1000027, 0x00C24EF2
.long 0xD3B1402E, 0x18025D26
.long 0xD13B0028, 0x00005310
.long 0xD13B0029, 0x00005311
.long 0xD13B002A, 0x00005312
.long 0xD13B002B, 0x00005313
.long 0xD13B002C, 0x00005314
.long 0xD13B002D, 0x00005315
.long 0xD13B002E, 0x00005316
.long 0xD13B002F, 0x00005317
.long 0xD3B24004, 0x18025118
.long 0xD3B24006, 0x1802551A
.long 0xD3B24008, 0x1802591C
.long 0xD3B2400A, 0x18025D1E
.long 0xBEC41E3A
.long 0x7E500304
.long 0x7E520305
.long 0x7E540306
.long 0x7E560307
.long 0x7E580308
.long 0x7E5A0309
.long 0x7E5C030A
.long 0x7E5E030B
.long 0xE07C1000, 0x8003280D
.long 0xE07C1010, 0x80032C0D
.long 0xD0CC0030, 0x0001003E
.long 0xD1000020, 0x00C240F2
.long 0xD1000021, 0x00C242F2
.long 0xD3B14040, 0x18028120
.long 0xD0CC0030, 0x0001003E
.long 0xD1000022, 0x00C244F2
.long 0xD1000023, 0x00C246F2
.long 0xD3B14042, 0x18028522
.long 0xD0CC0030, 0x0001003E
.long 0xD1000024, 0x00C248F2
.long 0xD1000025, 0x00C24AF2
.long 0xD3B14044, 0x18028924
.long 0xD0CC0030, 0x0001003E
.long 0xD1000026, 0x00C24CF2
.long 0xD1000027, 0x00C24EF2
.long 0xD3B14046, 0x18028D26
.long 0xD13B0040, 0x00005338
.long 0xD13B0041, 0x00005339
.long 0xD13B0042, 0x0000533A
.long 0xD13B0043, 0x0000533B
.long 0xD13B0044, 0x0000533C
.long 0xD13B0045, 0x0000533D
.long 0xD13B0046, 0x0000533E
.long 0xD13B0047, 0x0000533F
.long 0xD3B24004, 0x18028118
.long 0xD3B24006, 0x1802851A
.long 0xD3B24008, 0x1802891C
.long 0xD3B2400A, 0x18028D1E
.long 0xBEC41E3A
.long 0x7E800304
.long 0x7E820305
.long 0x7E840306
.long 0x7E860307
.long 0x7E880308
.long 0x7E8A0309
.long 0x7E8C030A
.long 0x7E8E030B
.long 0xE07C1000, 0x80034030
.long 0xE07C1010, 0x80034430
	;; [unrolled: 39-line block ×4, first 2 shown]
.long 0xBF800000
.long 0x7EB202FF, 0x80000000
.long 0xD1196A01, 0x00013B01
.long 0x92469D22
.long 0xD1340002, 0x00008D02
.long 0x92469D20
.long 0xD1340003, 0x00008D03
.long 0xD0C90046, 0x00002900
	;; [unrolled: 1-line block ×3, first 2 shown]
.long 0x86CA4A46
.long 0xD1FE000D, 0x020A0102
.long 0xD100000D, 0x012A1B59
	;; [unrolled: 1-line block ×6, first 2 shown]
.long 0x241C1C82
.long 0xD100000E, 0x012A1D59
.long 0xD9FE0000, 0x1800000E
	;; [unrolled: 1-line block ×3, first 2 shown]
.long 0x241E0082
.long 0xE05C1000, 0x800F200F
.long 0xE05C1010, 0x800F240F
	;; [unrolled: 1-line block ×9, first 2 shown]
.long 0x86CA4A46
.long 0xD1FE0030, 0x020A0102
.long 0xD1000030, 0x012A6159
.long 0xE05C1000, 0x80043830
.long 0xE05C1010, 0x80043C30
.long 0x924602FF, 0x00000100
.long 0xD1350031, 0x00008D00
.long 0x24626282
.long 0xD1000031, 0x012A6359
.long 0x24640082
.long 0xD1FE0030, 0x020A0103
.long 0xD1000030, 0x012A6159
.long 0xD1196A01, 0x00010301
.long 0xD1340002, 0x00004502
.long 0xD1340003, 0x00004103
.long 0xD0C90046, 0x00002900
.long 0xD0C9004A, 0x00002B01
.long 0x86CA4A46
.long 0xD1FE0033, 0x020A0102
.long 0xD1000033, 0x012A6759
.long 0xE05C1000, 0x80044833
.long 0xE05C1010, 0x80044C33
.long 0x924602FF, 0x00000100
.long 0xD1350034, 0x00008D00
.long 0x24686882
.long 0xD1000034, 0x012A6959
.long 0x246A0082
.long 0xD1FE0033, 0x020A0103
.long 0xD1000033, 0x012A6759
.long 0xD1196A01, 0x00010301
.long 0xD1340002, 0x00004502
.long 0xD1340003, 0x00004103
.long 0xD0C90046, 0x00002900
.long 0xD0C9004A, 0x00002B01
	;; [unrolled: 17-line block ×3, first 2 shown]
.long 0xD3D8402D, 0x180001B4
.long 0xD3D8402E, 0x180001B8
	;; [unrolled: 1-line block ×27, first 2 shown]
.long 0xBF800001
.long 0x0A505028
	;; [unrolled: 1-line block ×34, first 2 shown]
.long 0xD0CC0030, 0x0001003E
.long 0xD1000020, 0x00C240F2
.long 0xD1000021, 0x00C242F2
.long 0xD3B14028, 0x18025120
.long 0xD0CC0030, 0x0001003E
.long 0xD1000022, 0x00C244F2
.long 0xD1000023, 0x00C246F2
.long 0xD3B1402A, 0x18025522
.long 0xD0CC0030, 0x0001003E
.long 0xD1000024, 0x00C248F2
.long 0xD1000025, 0x00C24AF2
.long 0xD3B1402C, 0x18025924
.long 0xD0CC0030, 0x0001003E
.long 0xD1000026, 0x00C24CF2
.long 0xD1000027, 0x00C24EF2
.long 0xD3B1402E, 0x18025D26
.long 0xD13B0028, 0x00005310
.long 0xD13B0029, 0x00005311
.long 0xD13B002A, 0x00005312
.long 0xD13B002B, 0x00005313
.long 0xD13B002C, 0x00005314
.long 0xD13B002D, 0x00005315
.long 0xD13B002E, 0x00005316
.long 0xD13B002F, 0x00005317
.long 0xD3B24004, 0x18025118
.long 0xD3B24006, 0x1802551A
.long 0xD3B24008, 0x1802591C
.long 0xD3B2400A, 0x18025D1E
.long 0xBEC41E3A
.long 0x7E500304
.long 0x7E520305
.long 0x7E540306
.long 0x7E560307
.long 0x7E580308
.long 0x7E5A0309
.long 0x7E5C030A
.long 0x7E5E030B
.long 0xE07C1000, 0x8003280D
.long 0xE07C1010, 0x80032C0D
.long 0xD0CC0030, 0x0001003E
.long 0xD1000020, 0x00C240F2
.long 0xD1000021, 0x00C242F2
.long 0xD3B14040, 0x18028120
.long 0xD0CC0030, 0x0001003E
.long 0xD1000022, 0x00C244F2
.long 0xD1000023, 0x00C246F2
.long 0xD3B14042, 0x18028522
.long 0xD0CC0030, 0x0001003E
.long 0xD1000024, 0x00C248F2
.long 0xD1000025, 0x00C24AF2
.long 0xD3B14044, 0x18028924
.long 0xD0CC0030, 0x0001003E
.long 0xD1000026, 0x00C24CF2
.long 0xD1000027, 0x00C24EF2
.long 0xD3B14046, 0x18028D26
.long 0xD13B0040, 0x00005338
.long 0xD13B0041, 0x00005339
.long 0xD13B0042, 0x0000533A
.long 0xD13B0043, 0x0000533B
.long 0xD13B0044, 0x0000533C
.long 0xD13B0045, 0x0000533D
.long 0xD13B0046, 0x0000533E
.long 0xD13B0047, 0x0000533F
.long 0xD3B24004, 0x18028118
.long 0xD3B24006, 0x1802851A
.long 0xD3B24008, 0x1802891C
.long 0xD3B2400A, 0x18028D1E
.long 0xBEC41E3A
.long 0x7E800304
.long 0x7E820305
.long 0x7E840306
.long 0x7E860307
.long 0x7E880308
.long 0x7E8A0309
.long 0x7E8C030A
.long 0x7E8E030B
.long 0xE07C1000, 0x80034030
.long 0xE07C1010, 0x80034430
	;; [unrolled: 39-line block ×4, first 2 shown]
.long 0xBF800000
.long 0x7EB202FF, 0x80000000
.long 0xD1196A01, 0x00013B01
.long 0x92469D22
.long 0xD1340002, 0x00008D02
.long 0x92469D20
.long 0xD1340003, 0x00008D03
.long 0xD0C90046, 0x00002900
	;; [unrolled: 1-line block ×3, first 2 shown]
.long 0x86CA4A46
.long 0xD1FE000D, 0x020A0102
.long 0xD100000D, 0x012A1B59
	;; [unrolled: 1-line block ×6, first 2 shown]
.long 0x241C1C82
.long 0xD100000E, 0x012A1D59
.long 0xD9FE0000, 0x1800000E
	;; [unrolled: 1-line block ×3, first 2 shown]
.long 0x241E0082
.long 0xE05C1000, 0x800F200F
.long 0xE05C1010, 0x800F240F
.long 0xD1FE000D, 0x020A0103
.long 0xD100000D, 0x012A1B59
.long 0xD1196A01, 0x00010301
.long 0xD1340002, 0x00004502
.long 0xD1340003, 0x00004103
.long 0xD0C90046, 0x00002900
.long 0xD0C9004A, 0x00002B01
.long 0x86CA4A46
.long 0xD1FE0030, 0x020A0102
.long 0xD1000030, 0x012A6159
.long 0xE05C1000, 0x80043830
.long 0xE05C1010, 0x80043C30
.long 0x924602FF, 0x00000100
.long 0xD1350031, 0x00008D00
.long 0x24626282
.long 0xD1000031, 0x012A6359
.long 0x24640082
.long 0xD1FE0030, 0x020A0103
.long 0xD1000030, 0x012A6159
.long 0xD1196A01, 0x00010301
.long 0xD1340002, 0x00004502
.long 0xD1340003, 0x00004103
.long 0xD0C90046, 0x00002900
.long 0xD0C9004A, 0x00002B01
.long 0x86CA4A46
.long 0xD1FE0033, 0x020A0102
.long 0xD1000033, 0x012A6759
.long 0xE05C1000, 0x80044833
.long 0xE05C1010, 0x80044C33
.long 0x924602FF, 0x00000100
.long 0xD1350034, 0x00008D00
.long 0x24686882
.long 0xD1000034, 0x012A6959
.long 0x246A0082
.long 0xD1FE0033, 0x020A0103
.long 0xD1000033, 0x012A6759
.long 0xD1196A01, 0x00010301
.long 0xD1340002, 0x00004502
.long 0xD1340003, 0x00004103
.long 0xD0C90046, 0x00002900
.long 0xD0C9004A, 0x00002B01
	;; [unrolled: 17-line block ×3, first 2 shown]
.long 0xD3D8402D, 0x180001D4
.long 0xD3D8402E, 0x180001D8
	;; [unrolled: 1-line block ×27, first 2 shown]
.long 0xBF800001
.long 0x0A505028
	;; [unrolled: 1-line block ×34, first 2 shown]
.long 0xD0CC0030, 0x0001003E
.long 0xD1000020, 0x00C240F2
.long 0xD1000021, 0x00C242F2
.long 0xD3B14028, 0x18025120
.long 0xD0CC0030, 0x0001003E
.long 0xD1000022, 0x00C244F2
.long 0xD1000023, 0x00C246F2
.long 0xD3B1402A, 0x18025522
.long 0xD0CC0030, 0x0001003E
.long 0xD1000024, 0x00C248F2
.long 0xD1000025, 0x00C24AF2
.long 0xD3B1402C, 0x18025924
.long 0xD0CC0030, 0x0001003E
.long 0xD1000026, 0x00C24CF2
.long 0xD1000027, 0x00C24EF2
.long 0xD3B1402E, 0x18025D26
.long 0xD13B0028, 0x00005310
.long 0xD13B0029, 0x00005311
.long 0xD13B002A, 0x00005312
.long 0xD13B002B, 0x00005313
.long 0xD13B002C, 0x00005314
.long 0xD13B002D, 0x00005315
.long 0xD13B002E, 0x00005316
.long 0xD13B002F, 0x00005317
.long 0xD3B24004, 0x18025118
.long 0xD3B24006, 0x1802551A
.long 0xD3B24008, 0x1802591C
.long 0xD3B2400A, 0x18025D1E
.long 0xBEC41E3A
.long 0x7E500304
.long 0x7E520305
.long 0x7E540306
.long 0x7E560307
.long 0x7E580308
.long 0x7E5A0309
.long 0x7E5C030A
.long 0x7E5E030B
.long 0xE07C1000, 0x8003280D
.long 0xE07C1010, 0x80032C0D
.long 0xD0CC0030, 0x0001003E
.long 0xD1000020, 0x00C240F2
.long 0xD1000021, 0x00C242F2
.long 0xD3B14040, 0x18028120
.long 0xD0CC0030, 0x0001003E
.long 0xD1000022, 0x00C244F2
.long 0xD1000023, 0x00C246F2
.long 0xD3B14042, 0x18028522
.long 0xD0CC0030, 0x0001003E
.long 0xD1000024, 0x00C248F2
.long 0xD1000025, 0x00C24AF2
.long 0xD3B14044, 0x18028924
.long 0xD0CC0030, 0x0001003E
.long 0xD1000026, 0x00C24CF2
.long 0xD1000027, 0x00C24EF2
.long 0xD3B14046, 0x18028D26
.long 0xD13B0040, 0x00005338
.long 0xD13B0041, 0x00005339
.long 0xD13B0042, 0x0000533A
.long 0xD13B0043, 0x0000533B
.long 0xD13B0044, 0x0000533C
.long 0xD13B0045, 0x0000533D
.long 0xD13B0046, 0x0000533E
.long 0xD13B0047, 0x0000533F
.long 0xD3B24004, 0x18028118
.long 0xD3B24006, 0x1802851A
.long 0xD3B24008, 0x1802891C
.long 0xD3B2400A, 0x18028D1E
.long 0xBEC41E3A
.long 0x7E800304
.long 0x7E820305
.long 0x7E840306
.long 0x7E860307
.long 0x7E880308
.long 0x7E8A0309
.long 0x7E8C030A
.long 0x7E8E030B
.long 0xE07C1000, 0x80034030
.long 0xE07C1010, 0x80034430
	;; [unrolled: 39-line block ×4, first 2 shown]
.long 0xBF800000
.long 0x7EB202FF, 0x80000000
.long 0xD1196A01, 0x00013B01
.long 0x92469D22
.long 0xD1340002, 0x00008D02
.long 0x92469D20
.long 0xD1340003, 0x00008D03
.long 0xD0C90046, 0x00002900
	;; [unrolled: 1-line block ×3, first 2 shown]
.long 0x86CA4A46
.long 0xD1FE000D, 0x020A0102
.long 0xD100000D, 0x012A1B59
	;; [unrolled: 1-line block ×6, first 2 shown]
.long 0x241C1C82
.long 0xD100000E, 0x012A1D59
.long 0xD9FE0000, 0x1800000E
	;; [unrolled: 1-line block ×3, first 2 shown]
.long 0x241E0082
.long 0xE05C1000, 0x800F200F
.long 0xE05C1010, 0x800F240F
	;; [unrolled: 1-line block ×9, first 2 shown]
.long 0x86CA4A46
.long 0xD1FE0030, 0x020A0102
.long 0xD1000030, 0x012A6159
.long 0xE05C1000, 0x80043830
.long 0xE05C1010, 0x80043C30
.long 0x924602FF, 0x00000100
.long 0xD1350031, 0x00008D00
.long 0x24626282
.long 0xD1000031, 0x012A6359
.long 0x24640082
.long 0xD1FE0030, 0x020A0103
.long 0xD1000030, 0x012A6159
.long 0xD1196A01, 0x00010301
.long 0xD1340002, 0x00004502
.long 0xD1340003, 0x00004103
.long 0xD0C90046, 0x00002900
.long 0xD0C9004A, 0x00002B01
.long 0x86CA4A46
.long 0xD1FE0033, 0x020A0102
.long 0xD1000033, 0x012A6759
.long 0xE05C1000, 0x80044833
.long 0xE05C1010, 0x80044C33
.long 0x924602FF, 0x00000100
.long 0xD1350034, 0x00008D00
.long 0x24686882
.long 0xD1000034, 0x012A6959
.long 0x246A0082
.long 0xD1FE0033, 0x020A0103
.long 0xD1000033, 0x012A6759
.long 0xD1196A01, 0x00010301
.long 0xD1340002, 0x00004502
.long 0xD1340003, 0x00004103
.long 0xD0C90046, 0x00002900
.long 0xD0C9004A, 0x00002B01
	;; [unrolled: 17-line block ×3, first 2 shown]
.long 0xD3D8402D, 0x180001F4
.long 0xD3D8402E, 0x180001F8
	;; [unrolled: 1-line block ×27, first 2 shown]
.long 0xBF800001
.long 0x0A505028
	;; [unrolled: 1-line block ×34, first 2 shown]
.long 0xD0CC0030, 0x0001003E
.long 0xD1000020, 0x00C240F2
.long 0xD1000021, 0x00C242F2
.long 0xD3B14028, 0x18025120
.long 0xD0CC0030, 0x0001003E
.long 0xD1000022, 0x00C244F2
.long 0xD1000023, 0x00C246F2
.long 0xD3B1402A, 0x18025522
.long 0xD0CC0030, 0x0001003E
.long 0xD1000024, 0x00C248F2
.long 0xD1000025, 0x00C24AF2
.long 0xD3B1402C, 0x18025924
.long 0xD0CC0030, 0x0001003E
.long 0xD1000026, 0x00C24CF2
.long 0xD1000027, 0x00C24EF2
.long 0xD3B1402E, 0x18025D26
.long 0xD13B0028, 0x00005310
.long 0xD13B0029, 0x00005311
.long 0xD13B002A, 0x00005312
.long 0xD13B002B, 0x00005313
.long 0xD13B002C, 0x00005314
.long 0xD13B002D, 0x00005315
.long 0xD13B002E, 0x00005316
.long 0xD13B002F, 0x00005317
.long 0xD3B24004, 0x18025118
.long 0xD3B24006, 0x1802551A
.long 0xD3B24008, 0x1802591C
.long 0xD3B2400A, 0x18025D1E
.long 0xBEC41E3A
.long 0x7E500304
.long 0x7E520305
.long 0x7E540306
.long 0x7E560307
.long 0x7E580308
.long 0x7E5A0309
.long 0x7E5C030A
.long 0x7E5E030B
.long 0xE07C1000, 0x8003280D
.long 0xE07C1010, 0x80032C0D
.long 0xD0CC0030, 0x0001003E
.long 0xD1000020, 0x00C240F2
.long 0xD1000021, 0x00C242F2
.long 0xD3B14040, 0x18028120
.long 0xD0CC0030, 0x0001003E
.long 0xD1000022, 0x00C244F2
.long 0xD1000023, 0x00C246F2
.long 0xD3B14042, 0x18028522
.long 0xD0CC0030, 0x0001003E
.long 0xD1000024, 0x00C248F2
.long 0xD1000025, 0x00C24AF2
.long 0xD3B14044, 0x18028924
.long 0xD0CC0030, 0x0001003E
.long 0xD1000026, 0x00C24CF2
.long 0xD1000027, 0x00C24EF2
.long 0xD3B14046, 0x18028D26
.long 0xD13B0040, 0x00005338
.long 0xD13B0041, 0x00005339
.long 0xD13B0042, 0x0000533A
.long 0xD13B0043, 0x0000533B
.long 0xD13B0044, 0x0000533C
.long 0xD13B0045, 0x0000533D
.long 0xD13B0046, 0x0000533E
.long 0xD13B0047, 0x0000533F
.long 0xD3B24004, 0x18028118
.long 0xD3B24006, 0x1802851A
.long 0xD3B24008, 0x1802891C
.long 0xD3B2400A, 0x18028D1E
.long 0xBEC41E3A
.long 0x7E800304
.long 0x7E820305
.long 0x7E840306
.long 0x7E860307
.long 0x7E880308
.long 0x7E8A0309
.long 0x7E8C030A
.long 0x7E8E030B
.long 0xE07C1000, 0x80034030
.long 0xE07C1010, 0x80034430
	;; [unrolled: 39-line block ×4, first 2 shown]
.long 0xBF800000
.long 0x7EB202FF, 0x80000000
.long 0xD1196A01, 0x00013B01
.long 0x92469D22
.long 0xD1340002, 0x00008D02
.long 0x92469D20
.long 0xD1340003, 0x00008D03
.long 0xD0C90046, 0x00002900
	;; [unrolled: 1-line block ×3, first 2 shown]
.long 0x86CA4A46
.long 0xD1FE000D, 0x020A0102
.long 0xD100000D, 0x012A1B59
	;; [unrolled: 1-line block ×6, first 2 shown]
.long 0x241C1C82
.long 0xD100000E, 0x012A1D59
.long 0xD9FE0000, 0x1800000E
	;; [unrolled: 1-line block ×3, first 2 shown]
.long 0x241E0082
.long 0xE05C1000, 0x800F200F
.long 0xE05C1010, 0x800F240F
	;; [unrolled: 1-line block ×9, first 2 shown]
.long 0x86CA4A46
.long 0xD1FE0030, 0x020A0102
.long 0xD1000030, 0x012A6159
	;; [unrolled: 1-line block ×6, first 2 shown]
.long 0x24626282
.long 0xD1000031, 0x012A6359
.long 0x24640082
.long 0xD1FE0030, 0x020A0103
.long 0xD1000030, 0x012A6159
	;; [unrolled: 1-line block ×7, first 2 shown]
.long 0x86CA4A46
.long 0xD1FE0033, 0x020A0102
.long 0xD1000033, 0x012A6759
	;; [unrolled: 1-line block ×6, first 2 shown]
.long 0x24686882
.long 0xD1000034, 0x012A6959
.long 0x246A0082
.long 0xD1FE0033, 0x020A0103
.long 0xD1000033, 0x012A6759
	;; [unrolled: 1-line block ×7, first 2 shown]
.long 0x86CA4A46
.long 0xD1FE0036, 0x020A0102
.long 0xD1000036, 0x012A6D59
	;; [unrolled: 1-line block ×6, first 2 shown]
.long 0x246E6E82
.long 0xD1000037, 0x012A6F59
.long 0x24B00082
.long 0xD1FE0036, 0x020A0103
.long 0xD1000036, 0x012A6D59
.long 0x7E500384
.long 0x7E520388
	;; [unrolled: 1-line block ×66, first 2 shown]
.long 0xD0CC0030, 0x0001003E
.long 0xD1000020, 0x00C240F2
.long 0xD1000021, 0x00C242F2
.long 0xD3B14028, 0x18025120
.long 0xD0CC0030, 0x0001003E
.long 0xD1000022, 0x00C244F2
.long 0xD1000023, 0x00C246F2
.long 0xD3B1402A, 0x18025522
.long 0xD0CC0030, 0x0001003E
.long 0xD1000024, 0x00C248F2
.long 0xD1000025, 0x00C24AF2
.long 0xD3B1402C, 0x18025924
.long 0xD0CC0030, 0x0001003E
.long 0xD1000026, 0x00C24CF2
.long 0xD1000027, 0x00C24EF2
.long 0xD3B1402E, 0x18025D26
.long 0xD13B0028, 0x00005310
.long 0xD13B0029, 0x00005311
.long 0xD13B002A, 0x00005312
.long 0xD13B002B, 0x00005313
.long 0xD13B002C, 0x00005314
.long 0xD13B002D, 0x00005315
.long 0xD13B002E, 0x00005316
.long 0xD13B002F, 0x00005317
.long 0xD3B24004, 0x18025118
.long 0xD3B24006, 0x1802551A
.long 0xD3B24008, 0x1802591C
.long 0xD3B2400A, 0x18025D1E
.long 0xBEC41E3A
.long 0x7E500304
.long 0x7E520305
.long 0x7E540306
.long 0x7E560307
.long 0x7E580308
.long 0x7E5A0309
.long 0x7E5C030A
.long 0x7E5E030B
.long 0xE07C1000, 0x8003280D
.long 0xE07C1010, 0x80032C0D
.long 0xD0CC0030, 0x0001003E
.long 0xD1000020, 0x00C240F2
.long 0xD1000021, 0x00C242F2
.long 0xD3B14040, 0x18028120
.long 0xD0CC0030, 0x0001003E
.long 0xD1000022, 0x00C244F2
.long 0xD1000023, 0x00C246F2
.long 0xD3B14042, 0x18028522
.long 0xD0CC0030, 0x0001003E
.long 0xD1000024, 0x00C248F2
.long 0xD1000025, 0x00C24AF2
.long 0xD3B14044, 0x18028924
.long 0xD0CC0030, 0x0001003E
.long 0xD1000026, 0x00C24CF2
.long 0xD1000027, 0x00C24EF2
.long 0xD3B14046, 0x18028D26
.long 0xD13B0040, 0x00005338
.long 0xD13B0041, 0x00005339
.long 0xD13B0042, 0x0000533A
.long 0xD13B0043, 0x0000533B
.long 0xD13B0044, 0x0000533C
.long 0xD13B0045, 0x0000533D
.long 0xD13B0046, 0x0000533E
.long 0xD13B0047, 0x0000533F
.long 0xD3B24004, 0x18028118
.long 0xD3B24006, 0x1802851A
.long 0xD3B24008, 0x1802891C
.long 0xD3B2400A, 0x18028D1E
.long 0xBEC41E3A
.long 0x7E800304
.long 0x7E820305
.long 0x7E840306
.long 0x7E860307
.long 0x7E880308
.long 0x7E8A0309
.long 0x7E8C030A
.long 0x7E8E030B
.long 0xE07C1000, 0x80034030
.long 0xE07C1010, 0x80034430
	;; [unrolled: 39-line block ×4, first 2 shown]
.long 0xBF800000
.long 0x7EB202FF, 0x80000000
.long 0xD1196A01, 0x00013B01
.long 0x92469D22
.long 0xD1340002, 0x00008D02
.long 0x92469D20
.long 0xD1340003, 0x00008D03
.long 0xD0C90046, 0x00002900
	;; [unrolled: 1-line block ×3, first 2 shown]
.long 0x86CA4A46
.long 0xD1FE000D, 0x020A0102
.long 0xD100000D, 0x012A1B59
	;; [unrolled: 1-line block ×6, first 2 shown]
.long 0x241C1C82
.long 0xD100000E, 0x012A1D59
.long 0xD9FE0000, 0x1800000E
	;; [unrolled: 1-line block ×3, first 2 shown]
.long 0x241E0082
.long 0xE05C1000, 0x800F200F
.long 0xE05C1010, 0x800F240F
	;; [unrolled: 1-line block ×9, first 2 shown]
.long 0x86CA4A46
.long 0xD1FE0030, 0x020A0102
.long 0xD1000030, 0x012A6159
	;; [unrolled: 1-line block ×6, first 2 shown]
.long 0x24626282
.long 0xD1000031, 0x012A6359
.long 0x24640082
.long 0xD1FE0030, 0x020A0103
.long 0xD1000030, 0x012A6159
	;; [unrolled: 1-line block ×7, first 2 shown]
.long 0x86CA4A46
.long 0xD1FE0033, 0x020A0102
.long 0xD1000033, 0x012A6759
	;; [unrolled: 1-line block ×6, first 2 shown]
.long 0x24686882
.long 0xD1000034, 0x012A6959
.long 0x246A0082
.long 0xD1FE0033, 0x020A0103
.long 0xD1000033, 0x012A6759
	;; [unrolled: 1-line block ×7, first 2 shown]
.long 0x86CA4A46
.long 0xD1FE0036, 0x020A0102
.long 0xD1000036, 0x012A6D59
	;; [unrolled: 1-line block ×6, first 2 shown]
.long 0x246E6E82
.long 0xD1000037, 0x012A6F59
.long 0x24B00082
.long 0xD1FE0036, 0x020A0103
.long 0xD1000036, 0x012A6D59
.long 0x7E5003A4
.long 0x7E5203A8
.long 0x7E5403AC
.long 0x7E5603B0
.long 0x7E5803B4
.long 0x7E5A03B8
.long 0x7E5C03BC
.long 0x7E5E03C0
.long 0x7E8003A5
.long 0x7E8203A9
.long 0x7E8403AD
.long 0x7E8603B1
.long 0x7E8803B5
.long 0x7E8A03B9
.long 0x7E8C03BD
.long 0x7E8E03C1
.long 0x7EA003A6
.long 0x7EA203AA
.long 0x7EA403AE
.long 0x7EA603B2
.long 0x7EA803B6
.long 0x7EAA03BA
.long 0x7EAC03BE
.long 0x7EAE03C2
.long 0x7ED003A7
.long 0x7ED203AB
.long 0x7ED403AF
.long 0x7ED603B3
.long 0x7ED803B7
.long 0x7EDA03BB
.long 0x7EDC03BF
.long 0x7EDE03C3
.long 0xBF800001
.long 0x0A505028
.long 0x0A525228
.long 0x0A545428
.long 0x0A565628
.long 0x0A585828
.long 0x0A5A5A28
.long 0x0A5C5C28
.long 0x0A5E5E28
.long 0x0A808028
.long 0x0A828228
.long 0x0A848428
.long 0x0A868628
.long 0x0A888828
.long 0x0A8A8A28
.long 0x0A8C8C28
.long 0x0A8E8E28
.long 0x0AA0A028
.long 0x0AA2A228
.long 0x0AA4A428
.long 0x0AA6A628
.long 0x0AA8A828
.long 0x0AAAAA28
.long 0x0AACAC28
.long 0x0AAEAE28
.long 0x0AD0D028
.long 0x0AD2D228
.long 0x0AD4D428
.long 0x0AD6D628
.long 0x0AD8D828
.long 0x0ADADA28
.long 0x0ADCDC28
.long 0x0ADEDE28
.long 0xBF8C0000
.long 0xD0CC0030, 0x0001003E
.long 0xD1000020, 0x00C240F2
.long 0xD1000021, 0x00C242F2
.long 0xD3B14028, 0x18025120
.long 0xD0CC0030, 0x0001003E
.long 0xD1000022, 0x00C244F2
.long 0xD1000023, 0x00C246F2
.long 0xD3B1402A, 0x18025522
.long 0xD0CC0030, 0x0001003E
.long 0xD1000024, 0x00C248F2
.long 0xD1000025, 0x00C24AF2
.long 0xD3B1402C, 0x18025924
.long 0xD0CC0030, 0x0001003E
.long 0xD1000026, 0x00C24CF2
.long 0xD1000027, 0x00C24EF2
.long 0xD3B1402E, 0x18025D26
.long 0xD13B0028, 0x00005310
.long 0xD13B0029, 0x00005311
.long 0xD13B002A, 0x00005312
.long 0xD13B002B, 0x00005313
.long 0xD13B002C, 0x00005314
.long 0xD13B002D, 0x00005315
.long 0xD13B002E, 0x00005316
.long 0xD13B002F, 0x00005317
.long 0xD3B24004, 0x18025118
.long 0xD3B24006, 0x1802551A
.long 0xD3B24008, 0x1802591C
.long 0xD3B2400A, 0x18025D1E
.long 0xBEC41E3A
.long 0x7E500304
.long 0x7E520305
.long 0x7E540306
.long 0x7E560307
.long 0x7E580308
.long 0x7E5A0309
.long 0x7E5C030A
.long 0x7E5E030B
.long 0xE07C1000, 0x8003280D
.long 0xE07C1010, 0x80032C0D
.long 0xD0CC0030, 0x0001003E
.long 0xD1000020, 0x00C240F2
.long 0xD1000021, 0x00C242F2
.long 0xD3B14040, 0x18028120
.long 0xD0CC0030, 0x0001003E
.long 0xD1000022, 0x00C244F2
.long 0xD1000023, 0x00C246F2
.long 0xD3B14042, 0x18028522
.long 0xD0CC0030, 0x0001003E
.long 0xD1000024, 0x00C248F2
.long 0xD1000025, 0x00C24AF2
.long 0xD3B14044, 0x18028924
.long 0xD0CC0030, 0x0001003E
.long 0xD1000026, 0x00C24CF2
.long 0xD1000027, 0x00C24EF2
.long 0xD3B14046, 0x18028D26
.long 0xD13B0040, 0x00005338
.long 0xD13B0041, 0x00005339
.long 0xD13B0042, 0x0000533A
.long 0xD13B0043, 0x0000533B
.long 0xD13B0044, 0x0000533C
.long 0xD13B0045, 0x0000533D
.long 0xD13B0046, 0x0000533E
.long 0xD13B0047, 0x0000533F
.long 0xD3B24004, 0x18028118
.long 0xD3B24006, 0x1802851A
.long 0xD3B24008, 0x1802891C
.long 0xD3B2400A, 0x18028D1E
.long 0xBEC41E3A
.long 0x7E800304
.long 0x7E820305
.long 0x7E840306
.long 0x7E860307
.long 0x7E880308
.long 0x7E8A0309
.long 0x7E8C030A
.long 0x7E8E030B
.long 0xE07C1000, 0x80034030
.long 0xE07C1010, 0x80034430
	;; [unrolled: 39-line block ×4, first 2 shown]
.long 0xBF800000
.long 0xBF820201
	;; [unrolled: 1-line block ×3, first 2 shown]
.long 0x260808FF, 0x7FFFFFFF
.long 0x260A0AFF, 0x7FFFFFFF
	;; [unrolled: 1-line block ×8, first 2 shown]
.long 0xBE801D44
.long 0xD044006A, 0x00006D04
.long 0x14080837
.long 0x00080880
.long 0xD044006A, 0x00006D05
.long 0x140A0A37
	;; [unrolled: 3-line block ×8, first 2 shown]
.long 0x00161680
.long 0xBE801D44
.long 0x0A1808FF, 0x3D372713
.long 0xD1CB000C, 0x03CA1904
.long 0x0A181904
.long 0x0A1818FF, 0x40135761
.long 0x7E18410C
.long 0xBF800000
.long 0x021818F2
.long 0x7E18450C
.long 0xBF800000
.long 0xD1CB000C, 0x03D218F5
.long 0x0A181904
.long 0x0A0818F0
.long 0x0A180AFF, 0x3D372713
.long 0xD1CB000C, 0x03CA1905
.long 0x0A181905
.long 0x0A1818FF, 0x40135761
.long 0x7E18410C
.long 0xBF800000
.long 0x021818F2
.long 0x7E18450C
.long 0xBF800000
.long 0xD1CB000C, 0x03D218F5
	;; [unrolled: 12-line block ×8, first 2 shown]
.long 0x0A18190B
.long 0x0A1618F0
	;; [unrolled: 1-line block ×4, first 2 shown]
.long 0xD046006A, 0x00010104
.long 0x0008090C
.long 0x0A180A36
.long 0xD046006A, 0x00010105
.long 0x000A0B0C
.long 0x0A180C36
	;; [unrolled: 3-line block ×8, first 2 shown]
.long 0xD10B0004, 0x00010104
.long 0xD10B0005, 0x00010105
	;; [unrolled: 1-line block ×8, first 2 shown]
.long 0xBE801D44
.long 0x0A0808FF, 0xBFB8AA3B
.long 0x7E084104
.long 0xBF800000
.long 0x020808F2
.long 0x7E084504
.long 0xBF800000
.long 0x0A0A0AFF, 0xBFB8AA3B
.long 0x7E0A4105
.long 0xBF800000
.long 0x020A0AF2
.long 0x7E0A4505
	;; [unrolled: 6-line block ×8, first 2 shown]
.long 0xBF800000
.long 0xBE801D44
	;; [unrolled: 1-line block ×3, first 2 shown]
.long 0x0A0808FF, 0x4038AA3B
.long 0x7E084104
.long 0xBF800000
.long 0x020808F2
.long 0x7E084504
.long 0xBF800000
.long 0xD1CB0004, 0x03CA08F5
.long 0x0A080837
.long 0x0A0A0A36
.long 0x0A0A0AFF, 0x4038AA3B
.long 0x7E0A4105
.long 0xBF800000
.long 0x020A0AF2
.long 0x7E0A4505
.long 0xBF800000
.long 0xD1CB0005, 0x03CA0AF5
.long 0x0A0A0A37
.long 0x0A0C0C36
	;; [unrolled: 9-line block ×8, first 2 shown]
.long 0x0A1808FF, 0x3D372713
.long 0xD1CB000C, 0x03CA1904
.long 0x0A181904
.long 0x0A1818FF, 0x40135761
.long 0x7E18410C
.long 0xBF800000
.long 0x021818F2
.long 0x7E18450C
.long 0xBF800000
.long 0xD1CB000C, 0x03D218F5
.long 0x0A181904
.long 0x0A1818F0
.long 0x0A081836
.long 0x0A180AFF, 0x3D372713
.long 0xD1CB000C, 0x03CA1905
.long 0x0A181905
.long 0x0A1818FF, 0x40135761
.long 0x7E18410C
.long 0xBF800000
.long 0x021818F2
.long 0x7E18450C
.long 0xBF800000
.long 0xD1CB000C, 0x03D218F5
.long 0x0A181905
.long 0x0A1818F0
.long 0x0A0A1836
	;; [unrolled: 13-line block ×8, first 2 shown]
.long 0xBE801D44
.long 0xBF810000
	;; [unrolled: 1-line block ×34, first 2 shown]
.long 0xBE8B00FF, 0x00000100
.long 0xD2850002, 0x0002040B
	;; [unrolled: 1-line block ×3, first 2 shown]
.long 0x20011088
.long 0xBE8B00FF, 0x00000160
.long 0xD2850000, 0x0002000B
	;; [unrolled: 1-line block ×3, first 2 shown]
.long 0x2004FE87
.long 0x24040483
	;; [unrolled: 1-line block ×3, first 2 shown]
.long 0x32FEFEFF, 0x00004000
.long 0x260910BF
.long 0x20020885
	;; [unrolled: 1-line block ×13, first 2 shown]
.long 0x920BFF0B, 0x00000058
.long 0x6804040B
.long 0x24060682
.long 0x10B802FF, 0x00000100
.long 0xD1FE005C, 0x0206B900
.long 0x10BA04A0
.long 0xD1FE005D, 0x0206BB03
.long 0x2008BA87
.long 0x24080883
	;; [unrolled: 1-line block ×3, first 2 shown]
.long 0x32BABAFF, 0x00004000
.long 0xBF8CC07F
.long 0x809C881C
	;; [unrolled: 1-line block ×5, first 2 shown]
.long 0xD042006A, 0x00010028
.long 0xBF860001
.long 0xBE970080
.long 0xD2850004, 0x00020224
.long 0x32BC0900
.long 0x68BCBC88
	;; [unrolled: 1-line block ×5, first 2 shown]
.long 0xD2850004, 0x00020426
.long 0x32BE0903
.long 0x68BEBE84
	;; [unrolled: 1-line block ×19, first 2 shown]
.long 0x9245FF26, 0x00000048
.long 0x8E458145
.long 0x9246FF26, 0x00000050
.long 0x8E468146
.long 0x964BFF02, 0x00000100
.long 0x924AFF02, 0x00000100
.long 0xBECC0081
.long 0xBECD0080
.long 0x80C88114
.long 0x96494881
.long 0x92484881
.long 0x804C484C
.long 0x824D494D
.long 0x80C88117
.long 0x96494824
.long 0x92484824
.long 0x804C484C
.long 0x824D494D
.long 0x80B44A4C
.long 0x82B54B4D
.long 0x80348834
.long 0x82358035
.long 0xBF068035
.long 0x852EC134
.long 0x96490425
.long 0x92480425
.long 0x804A484A
.long 0x824B494B
.long 0x802C4A1C
.long 0x822D4B1D
.long 0xBEAF00FF, 0x00020000
.long 0x964BFF03, 0x00000180
	;; [unrolled: 1-line block ×3, first 2 shown]
.long 0x964B264A
.long 0x924A264A
	;; [unrolled: 1-line block ×28, first 2 shown]
.long 0xBEB300FF, 0x00020000
.long 0x9247A02A
.long 0x920B2447
	;; [unrolled: 1-line block ×8, first 2 shown]
.long 0xE0541000, 0x800B605E
.long 0xE0541000, 0x3A0B625E
	;; [unrolled: 1-line block ×15, first 2 shown]
.long 0x802C0B2C
.long 0x822D802D
	;; [unrolled: 1-line block ×14, first 2 shown]
.long 0xBE8E00FF, 0x80000000
.long 0xBE8F00FF, 0x00020000
.long 0xBE90001A
.long 0xBE91001B
.long 0xBE9200FF, 0x80000000
.long 0xBE9300FF, 0x00020000
.long 0x924A03FF, 0x00000180
.long 0x9649224A
.long 0x9248224A
	;; [unrolled: 1-line block ×20, first 2 shown]
.long 0xD3D94000, 0x18000080
.long 0xD3D94001, 0x18000080
.long 0xD3D94002, 0x18000080
.long 0xD3D94003, 0x18000080
.long 0xD3D94004, 0x18000080
.long 0xD3D94005, 0x18000080
.long 0xD3D94006, 0x18000080
.long 0xD3D94007, 0x18000080
.long 0xD3D94008, 0x18000080
.long 0xD3D94009, 0x18000080
.long 0xD3D9400A, 0x18000080
.long 0xD3D9400B, 0x18000080
.long 0xD3D9400C, 0x18000080
.long 0xD3D9400D, 0x18000080
.long 0xD3D9400E, 0x18000080
.long 0xD3D9400F, 0x18000080
.long 0xD3D94010, 0x18000080
.long 0xD3D94011, 0x18000080
.long 0xD3D94012, 0x18000080
.long 0xD3D94013, 0x18000080
.long 0xD3D94014, 0x18000080
.long 0xD3D94015, 0x18000080
.long 0xD3D94016, 0x18000080
.long 0xD3D94017, 0x18000080
.long 0xD3D94018, 0x18000080
.long 0xD3D94019, 0x18000080
.long 0xD3D9401A, 0x18000080
.long 0xD3D9401B, 0x18000080
.long 0xD3D9401C, 0x18000080
.long 0xD3D9401D, 0x18000080
.long 0xD3D9401E, 0x18000080
.long 0xD3D9401F, 0x18000080
.long 0xD3D94020, 0x18000080
.long 0xD3D94021, 0x18000080
.long 0xD3D94022, 0x18000080
.long 0xD3D94023, 0x18000080
.long 0xD3D94024, 0x18000080
.long 0xD3D94025, 0x18000080
.long 0xD3D94026, 0x18000080
.long 0xD3D94027, 0x18000080
.long 0xD3D94028, 0x18000080
.long 0xD3D94029, 0x18000080
.long 0xD3D9402A, 0x18000080
.long 0xD3D9402B, 0x18000080
.long 0xD3D9402C, 0x18000080
.long 0xD3D9402D, 0x18000080
.long 0xD3D9402E, 0x18000080
.long 0xD3D9402F, 0x18000080
.long 0xD3D94030, 0x18000080
.long 0xD3D94031, 0x18000080
.long 0xD3D94032, 0x18000080
.long 0xD3D94033, 0x18000080
.long 0xD3D94034, 0x18000080
.long 0xD3D94035, 0x18000080
.long 0xD3D94036, 0x18000080
.long 0xD3D94037, 0x18000080
.long 0xD3D94038, 0x18000080
.long 0xD3D94039, 0x18000080
.long 0xD3D9403A, 0x18000080
.long 0xD3D9403B, 0x18000080
.long 0xD3D9403C, 0x18000080
.long 0xD3D9403D, 0x18000080
.long 0xD3D9403E, 0x18000080
.long 0xD3D9403F, 0x18000080
.long 0xD3D94040, 0x18000080
.long 0xD3D94041, 0x18000080
.long 0xD3D94042, 0x18000080
.long 0xD3D94043, 0x18000080
.long 0xD3D94044, 0x18000080
.long 0xD3D94045, 0x18000080
.long 0xD3D94046, 0x18000080
.long 0xD3D94047, 0x18000080
.long 0xD3D94048, 0x18000080
.long 0xD3D94049, 0x18000080
.long 0xD3D9404A, 0x18000080
.long 0xD3D9404B, 0x18000080
.long 0xD3D9404C, 0x18000080
.long 0xD3D9404D, 0x18000080
.long 0xD3D9404E, 0x18000080
.long 0xD3D9404F, 0x18000080
.long 0xD3D94050, 0x18000080
.long 0xD3D94051, 0x18000080
.long 0xD3D94052, 0x18000080
.long 0xD3D94053, 0x18000080
.long 0xD3D94054, 0x18000080
.long 0xD3D94055, 0x18000080
.long 0xD3D94056, 0x18000080
.long 0xD3D94057, 0x18000080
.long 0xD3D94058, 0x18000080
.long 0xD3D94059, 0x18000080
.long 0xD3D9405A, 0x18000080
.long 0xD3D9405B, 0x18000080
.long 0xD3D9405C, 0x18000080
.long 0xD3D9405D, 0x18000080
.long 0xD3D9405E, 0x18000080
.long 0xD3D9405F, 0x18000080
.long 0xD3D94060, 0x18000080
.long 0xD3D94061, 0x18000080
.long 0xD3D94062, 0x18000080
.long 0xD3D94063, 0x18000080
.long 0xD3D94064, 0x18000080
.long 0xD3D94065, 0x18000080
.long 0xD3D94066, 0x18000080
.long 0xD3D94067, 0x18000080
.long 0xD3D94068, 0x18000080
.long 0xD3D94069, 0x18000080
.long 0xD3D9406A, 0x18000080
.long 0xD3D9406B, 0x18000080
.long 0xD3D9406C, 0x18000080
.long 0xD3D9406D, 0x18000080
.long 0xD3D9406E, 0x18000080
.long 0xD3D9406F, 0x18000080
.long 0xD3D94070, 0x18000080
.long 0xD3D94071, 0x18000080
.long 0xD3D94072, 0x18000080
.long 0xD3D94073, 0x18000080
.long 0xD3D94074, 0x18000080
.long 0xD3D94075, 0x18000080
.long 0xD3D94076, 0x18000080
.long 0xD3D94077, 0x18000080
.long 0xD3D94078, 0x18000080
.long 0xD3D94079, 0x18000080
.long 0xD3D9407A, 0x18000080
.long 0xD3D9407B, 0x18000080
.long 0xD3D9407C, 0x18000080
.long 0xD3D9407D, 0x18000080
.long 0xD3D9407E, 0x18000080
.long 0xD3D9407F, 0x18000080
.long 0xD3D94080, 0x18000080
.long 0xD3D94081, 0x18000080
.long 0xD3D94082, 0x18000080
.long 0xD3D94083, 0x18000080
.long 0xD3D94084, 0x18000080
.long 0xD3D94085, 0x18000080
.long 0xD3D94086, 0x18000080
.long 0xD3D94087, 0x18000080
.long 0xD3D94088, 0x18000080
.long 0xD3D94089, 0x18000080
.long 0xD3D9408A, 0x18000080
.long 0xD3D9408B, 0x18000080
.long 0xD3D9408C, 0x18000080
.long 0xD3D9408D, 0x18000080
.long 0xD3D9408E, 0x18000080
.long 0xD3D9408F, 0x18000080
.long 0xD3D94090, 0x18000080
.long 0xD3D94091, 0x18000080
.long 0xD3D94092, 0x18000080
.long 0xD3D94093, 0x18000080
.long 0xD3D94094, 0x18000080
.long 0xD3D94095, 0x18000080
.long 0xD3D94096, 0x18000080
.long 0xD3D94097, 0x18000080
.long 0xD3D94098, 0x18000080
.long 0xD3D94099, 0x18000080
.long 0xD3D9409A, 0x18000080
.long 0xD3D9409B, 0x18000080
.long 0xD3D9409C, 0x18000080
.long 0xD3D9409D, 0x18000080
.long 0xD3D9409E, 0x18000080
.long 0xD3D9409F, 0x18000080
.long 0xD3D940A0, 0x18000080
.long 0xD3D940A1, 0x18000080
.long 0xD3D940A2, 0x18000080
.long 0xD3D940A3, 0x18000080
.long 0xD3D940A4, 0x18000080
.long 0xD3D940A5, 0x18000080
.long 0xD3D940A6, 0x18000080
.long 0xD3D940A7, 0x18000080
.long 0xD3D940A8, 0x18000080
.long 0xD3D940A9, 0x18000080
.long 0xD3D940AA, 0x18000080
.long 0xD3D940AB, 0x18000080
.long 0xD3D940AC, 0x18000080
.long 0xD3D940AD, 0x18000080
.long 0xD3D940AE, 0x18000080
.long 0xD3D940AF, 0x18000080
.long 0xD3D940B0, 0x18000080
.long 0xD3D940B1, 0x18000080
.long 0xD3D940B2, 0x18000080
.long 0xD3D940B3, 0x18000080
.long 0xD3D940B4, 0x18000080
.long 0xD3D940B5, 0x18000080
.long 0xD3D940B6, 0x18000080
.long 0xD3D940B7, 0x18000080
.long 0xD3D940B8, 0x18000080
.long 0xD3D940B9, 0x18000080
.long 0xD3D940BA, 0x18000080
.long 0xD3D940BB, 0x18000080
.long 0xD3D940BC, 0x18000080
.long 0xD3D940BD, 0x18000080
.long 0xD3D940BE, 0x18000080
.long 0xD3D940BF, 0x18000080
.long 0xD3D940C0, 0x18000080
.long 0xD3D940C1, 0x18000080
.long 0xD3D940C2, 0x18000080
.long 0xD3D940C3, 0x18000080
.long 0xD3D940C4, 0x18000080
.long 0xD3D940C5, 0x18000080
.long 0xD3D940C6, 0x18000080
.long 0xD3D940C7, 0x18000080
.long 0xD3D940C8, 0x18000080
.long 0xD3D940C9, 0x18000080
.long 0xD3D940CA, 0x18000080
.long 0xD3D940CB, 0x18000080
.long 0xD3D940CC, 0x18000080
.long 0xD3D940CD, 0x18000080
.long 0xD3D940CE, 0x18000080
.long 0xD3D940CF, 0x18000080
.long 0xD3D940D0, 0x18000080
.long 0xD3D940D1, 0x18000080
.long 0xD3D940D2, 0x18000080
.long 0xD3D940D3, 0x18000080
.long 0xD3D940D4, 0x18000080
.long 0xD3D940D5, 0x18000080
.long 0xD3D940D6, 0x18000080
.long 0xD3D940D7, 0x18000080
.long 0xD3D940D8, 0x18000080
.long 0xD3D940D9, 0x18000080
.long 0xD3D940DA, 0x18000080
.long 0xD3D940DB, 0x18000080
.long 0xD3D940DC, 0x18000080
.long 0xD3D940DD, 0x18000080
.long 0xD3D940DE, 0x18000080
.long 0xD3D940DF, 0x18000080
.long 0xD3D940E0, 0x18000080
.long 0xD3D940E1, 0x18000080
.long 0xD3D940E2, 0x18000080
.long 0xD3D940E3, 0x18000080
.long 0xD3D940E4, 0x18000080
.long 0xD3D940E5, 0x18000080
.long 0xD3D940E6, 0x18000080
.long 0xD3D940E7, 0x18000080
.long 0xD3D940E8, 0x18000080
.long 0xD3D940E9, 0x18000080
.long 0xD3D940EA, 0x18000080
.long 0xD3D940EB, 0x18000080
.long 0xD3D940EC, 0x18000080
.long 0xD3D940ED, 0x18000080
.long 0xD3D940EE, 0x18000080
.long 0xD3D940EF, 0x18000080
.long 0xD3D940F0, 0x18000080
.long 0xD3D940F1, 0x18000080
.long 0xD3D940F2, 0x18000080
.long 0xD3D940F3, 0x18000080
.long 0xD3D940F4, 0x18000080
.long 0xD3D940F5, 0x18000080
.long 0xD3D940F6, 0x18000080
.long 0xD3D940F7, 0x18000080
.long 0xD3D940F8, 0x18000080
.long 0xD3D940F9, 0x18000080
.long 0xD3D940FA, 0x18000080
.long 0xD3D940FB, 0x18000080
.long 0xD3D940FC, 0x18000080
.long 0xD3D940FD, 0x18000080
.long 0xD3D940FE, 0x18000080
.long 0xD3D940FF, 0x18000080
.long 0x7F180280
.long 0x7F1A0280
	;; [unrolled: 1-line block ×99, first 2 shown]
.long 0x814A84FF, 0x00001EB0
.long 0x80484A48
.long 0x82498049
	;; [unrolled: 1-line block ×5, first 2 shown]
.long 0x7F0CACF9, 0x00040680
.long 0x7F0414F9, 0x00061486
.long 0x7F0414F9, 0x00061587
.long 0x7F0CACF9, 0x00050680
.long 0x7F0614F9, 0x00061486
.long 0x7F0614F9, 0x00061587
.long 0x7F0CACF9, 0x00040681
.long 0x7F0814F9, 0x00061486
.long 0x7F0814F9, 0x00061587
.long 0x7F0CACF9, 0x00050681
.long 0x7F0A14F9, 0x00061486
.long 0x7F0A14F9, 0x00061587
.long 0xD9BE0000, 0x0000825C
.long 0x7F007162
.long 0x7F0CACF9, 0x00040680
.long 0x7F0414F9, 0x00061486
.long 0x7F0414F9, 0x00061587
.long 0x7F0CACF9, 0x00050680
.long 0x7F0614F9, 0x00061486
.long 0x7F0614F9, 0x00061587
.long 0x7F0CACF9, 0x00040681
.long 0x7F0814F9, 0x00061486
.long 0x7F0814F9, 0x00061587
.long 0x7F0CACF9, 0x00050681
.long 0x7F0A14F9, 0x00061486
.long 0x7F0A14F9, 0x00061587
.long 0xD9BE0400, 0x0000825C
.long 0x7F007164
	;; [unrolled: 14-line block ×3, first 2 shown]
.long 0x7F0CACF9, 0x00040680
.long 0x7F0414F9, 0x00061486
.long 0x7F0414F9, 0x00061587
.long 0x7F0CACF9, 0x00050680
.long 0x7F0614F9, 0x00061486
.long 0x7F0614F9, 0x00061587
.long 0x7F0CACF9, 0x00040681
.long 0x7F0814F9, 0x00061486
.long 0x7F0814F9, 0x00061587
.long 0x7F0CACF9, 0x00050681
.long 0x7F0A14F9, 0x00061486
.long 0x7F0A14F9, 0x00061587
.long 0xD9BE0C00, 0x0000825C
.long 0xD89A0000, 0x0000685D
.long 0xD89A0220, 0x00006A5D
.long 0xD89A0440, 0x00006C5D
.long 0xD89A0660, 0x00006E5D
.long 0xD89A0880, 0x0000705D
.long 0xD89A0AA0, 0x0000725D
.long 0xD89A0CC0, 0x0000745D
.long 0xD89A0EE0, 0x0000765D
.long 0xD89A1100, 0x0000785D
.long 0xD89A1320, 0x00007A5D
.long 0xD89A1540, 0x00007C5D
.long 0xBF068105
.long 0xBF85001E
.long 0xE0541000, 0x800B605E
.long 0xE0541000, 0x3A0B625E
	;; [unrolled: 1-line block ×15, first 2 shown]
.long 0xBF8CC07F
.long 0xBF8A0000
.long 0xD9FE0000, 0x1000007E
.long 0xD9FE0200, 0x1800007E
	;; [unrolled: 1-line block ×15, first 2 shown]
.long 0xBF068105
.long 0xBF850521
	;; [unrolled: 1-line block ×5, first 2 shown]
.long 0xD1ED0000, 0x00E22118
.long 0xD1ED0001, 0x00E24128
.long 0xD1ED0002, 0x00E62118
.long 0xD1ED0003, 0x00E64128
.long 0xD1ED0004, 0x00E22319
.long 0xD3CD8000, 0x04020130
.long 0xD9FE2000, 0x1400007E
.long 0x802C0B2C
.long 0xD1ED0005, 0x00E24329
.long 0xD1ED0006, 0x00E62319
.long 0xD1ED0007, 0x00E64329
.long 0xD1ED0008, 0x00E2251A
.long 0xD1ED0009, 0x00E2452A
.long 0xD3CD8004, 0x04120530
.long 0xD9FE2200, 0x1C00007E
.long 0x822D802D
.long 0xD1ED000A, 0x00E6251A
.long 0xD1ED000B, 0x00E6452A
.long 0xD1ED000C, 0x00E2271B
.long 0xD1ED000D, 0x00E2472B
.long 0xD1ED000E, 0x00E6271B
.long 0xD3CD8008, 0x04220930
.long 0xD9FE2400, 0x2400007E
.long 0x80B40B34
.long 0xD1ED000F, 0x00E6472B
.long 0xD3CD800C, 0x04320D30
	;; [unrolled: 1-line block ×3, first 2 shown]
.long 0x82B58035
.long 0xD3CD8010, 0x04421130
.long 0xD8EC0020, 0x4600007F
.long 0xBF068035
.long 0xD3CD8014, 0x04521530
.long 0xD8EC08A0, 0x4800007F
	;; [unrolled: 3-line block ×9, first 2 shown]
.long 0xD3CD8034, 0x04D21532
.long 0xD8EC4CA0, 0x5800007F
	;; [unrolled: 1-line block ×13, first 2 shown]
.long 0xBF8CC07F
.long 0xBF8A0000
.long 0xD3CD8060, 0x05820136
.long 0xBF8C0F7E
.long 0x7F007160
.long 0xE0541000, 0x800B605E
.long 0xD3CD8064, 0x05920536
.long 0x7F0CACF9, 0x00040680
.long 0x7F0414F9, 0x00061486
.long 0x7F0414F9, 0x00061587
.long 0xD3CD8068, 0x05A20936
.long 0x7F0CACF9, 0x00050680
.long 0x7F0614F9, 0x00061486
.long 0x7F0614F9, 0x00061587
.long 0xD3CD806C, 0x05B20D36
.long 0x7F0CACF9, 0x00040681
.long 0x7F0814F9, 0x00061486
.long 0x7F0814F9, 0x00061587
.long 0xD3CD8070, 0x05C21136
.long 0x7F0CACF9, 0x00050681
.long 0x7F0A14F9, 0x00061486
.long 0x7F0A14F9, 0x00061587
.long 0xD3CD8074, 0x05D21536
.long 0xD9BE0000, 0x0000825C
.long 0xD3CD8078, 0x05E21936
.long 0xD3CD807C, 0x05F21D36
.long 0xD3CD8080, 0x06020138
.long 0xD3CD8084, 0x06120538
.long 0xBF8C0F7E
.long 0x7F007162
.long 0xE0541000, 0x3A0B625E
.long 0xD3CD8088, 0x06220938
.long 0x7F0CACF9, 0x00040680
.long 0x7F0414F9, 0x00061486
.long 0x7F0414F9, 0x00061587
.long 0xD3CD808C, 0x06320D38
.long 0x7F0CACF9, 0x00050680
.long 0x7F0614F9, 0x00061486
.long 0x7F0614F9, 0x00061587
.long 0xD3CD8090, 0x06421138
.long 0x7F0CACF9, 0x00040681
.long 0x7F0814F9, 0x00061486
.long 0x7F0814F9, 0x00061587
.long 0xD3CD8094, 0x06521538
.long 0x7F0CACF9, 0x00050681
.long 0x7F0A14F9, 0x00061486
.long 0x7F0A14F9, 0x00061587
.long 0xD3CD8098, 0x06621938
.long 0xD9BE0400, 0x0000825C
.long 0xD3CD809C, 0x06721D38
.long 0xD3CD80A0, 0x0682013A
.long 0xD3CD80A4, 0x0692053A
	;; [unrolled: 25-line block ×4, first 2 shown]
.long 0xD3CD80F0, 0x07C2113E
.long 0xBF8C0F7E
.long 0xD89A0000, 0x0000685D
.long 0xD3CD80F4, 0x07D2153E
.long 0xE0541000, 0x800C685F
.long 0xD3CD80F8, 0x07E2193E
.long 0xD3CD80FC, 0x07F21D3E
.long 0xD3CD008C, 0x06320140
.long 0xD3CD0090, 0x06420540
.long 0xD3CD0094, 0x06520940
.long 0xD3CD0098, 0x06620D40
.long 0xD3CD009C, 0x06721140
.long 0xD3CD00A0, 0x06821540
.long 0xBF8C0F7E
.long 0xD89A0220, 0x00006A5D
.long 0xD3CD00A4, 0x06921940
.long 0xE0541000, 0x3D0C6A5F
.long 0xD3CD00A8, 0x06A21D40
.long 0xD3CD00AC, 0x06B20142
.long 0xD3CD00B0, 0x06C20542
.long 0xD3CD00B4, 0x06D20942
.long 0xD3CD00B8, 0x06E20D42
.long 0xD3CD00BC, 0x06F21142
.long 0xD3CD00C0, 0x07021542
	;; [unrolled: 12-line block ×3, first 2 shown]
.long 0xD3CD00E8, 0x07A21D44
.long 0xBF8C0F7E
.long 0xD89A0660, 0x00006E5D
.long 0xBF8CC87F
.long 0xD1ED0000, 0x00E2291C
.long 0xD1ED0001, 0x00E2492C
	;; [unrolled: 1-line block ×26, first 2 shown]
.long 0xBF8C0F7E
.long 0xD89A0880, 0x0000705D
.long 0xD3CD8024, 0x04920548
.long 0xE0541000, 0x400C705F
.long 0xD3CD8028, 0x04A20948
.long 0xD3CD802C, 0x04B20D48
.long 0xD3CD8030, 0x04C21148
.long 0xD3CD8034, 0x04D21548
.long 0xD3CD8038, 0x04E21948
.long 0xD3CD803C, 0x04F21D48
.long 0xD3CD8040, 0x0502014A
.long 0xD3CD8044, 0x0512054A
.long 0xBF8C0F7E
.long 0xD89A0AA0, 0x0000725D
.long 0xD3CD8048, 0x0522094A
.long 0xE0541000, 0x410C725F
.long 0xD3CD804C, 0x05320D4A
.long 0xD3CD8050, 0x0542114A
.long 0xD3CD8054, 0x0552154A
.long 0xD3CD8058, 0x0562194A
.long 0xD3CD805C, 0x05721D4A
.long 0xD3CD8060, 0x0582014C
.long 0xD3CD8064, 0x0592054C
.long 0xD3CD8068, 0x05A2094C
	;; [unrolled: 12-line block ×3, first 2 shown]
.long 0xD3CD8090, 0x0642114E
.long 0xBF8C0F7E
.long 0xD89A0EE0, 0x0000765D
.long 0xD3CD8094, 0x0652154E
.long 0xE0541000, 0x430C765F
.long 0xD3CD8098, 0x0662194E
.long 0xD3CD809C, 0x06721D4E
.long 0xD3CD80A0, 0x06820150
.long 0xD3CD80A4, 0x06920550
.long 0xD3CD80A8, 0x06A20950
.long 0xD3CD80AC, 0x06B20D50
.long 0xD3CD80B0, 0x06C21150
.long 0xD3CD80B4, 0x06D21550
.long 0xBF8C0F7E
.long 0xD89A1100, 0x0000785D
.long 0xD3CD80B8, 0x06E21950
.long 0xE0541000, 0x440C785F
.long 0xD3CD80BC, 0x06F21D50
.long 0xD3CD80C0, 0x07020152
.long 0xD3CD80C4, 0x07120552
.long 0xD3CD80C8, 0x07220952
.long 0xD3CD80CC, 0x07320D52
.long 0xD3CD80D0, 0x07421152
.long 0xD3CD80D4, 0x07521552
	;; [unrolled: 12-line block ×3, first 2 shown]
.long 0xD3CD80FC, 0x07F21D54
.long 0xBF8C0F7E
.long 0xD89A1540, 0x00007C5D
.long 0xD3CD008C, 0x06320156
	;; [unrolled: 1-line block ×5, first 2 shown]
.long 0xBF8CC07F
.long 0xBF8A0000
.long 0xD3CD0098, 0x06620D56
.long 0xD9FE0000, 0x1000007E
	;; [unrolled: 1-line block ×36, first 2 shown]
.long 0x80858105
.long 0xBF008205
.long 0xBF84FD60
.long 0xBF8CC07F
.long 0xD1ED0000, 0x00E22118
.long 0xD1ED0001, 0x00E24128
.long 0xD1ED0002, 0x00E62118
.long 0xD1ED0003, 0x00E64128
.long 0xD1ED0004, 0x00E22319
.long 0xD3CD8000, 0x04020130
.long 0xD9FE2000, 0x1400007E
.long 0x802C0B2C
.long 0xD1ED0005, 0x00E24329
.long 0xD1ED0006, 0x00E62319
.long 0xD1ED0007, 0x00E64329
.long 0xD1ED0008, 0x00E2251A
.long 0xD1ED0009, 0x00E2452A
.long 0xD3CD8004, 0x04120530
.long 0xD9FE2200, 0x1C00007E
.long 0x822D802D
	;; [unrolled: 8-line block ×3, first 2 shown]
.long 0xD1ED000F, 0x00E6472B
.long 0xD3CD800C, 0x04320D30
	;; [unrolled: 1-line block ×3, first 2 shown]
.long 0x82B58035
.long 0xD3CD8010, 0x04421130
.long 0xD8EC0020, 0x4600007F
.long 0xBF068035
.long 0xD3CD8014, 0x04521530
.long 0xD8EC08A0, 0x4800007F
	;; [unrolled: 3-line block ×9, first 2 shown]
.long 0xD3CD8034, 0x04D21532
.long 0xD8EC4CA0, 0x5800007F
	;; [unrolled: 1-line block ×13, first 2 shown]
.long 0xBF8CC07F
.long 0xBF8A0000
.long 0xD3CD8060, 0x05820136
.long 0xBF8C0F7E
.long 0x7F007160
.long 0xD3CD8064, 0x05920536
.long 0x7F0CACF9, 0x00040680
.long 0x7F0414F9, 0x00061486
.long 0x7F0414F9, 0x00061587
.long 0xD3CD8068, 0x05A20936
.long 0x7F0CACF9, 0x00050680
.long 0x7F0614F9, 0x00061486
.long 0x7F0614F9, 0x00061587
.long 0xD3CD806C, 0x05B20D36
.long 0x7F0CACF9, 0x00040681
.long 0x7F0814F9, 0x00061486
.long 0x7F0814F9, 0x00061587
.long 0xD3CD8070, 0x05C21136
.long 0x7F0CACF9, 0x00050681
.long 0x7F0A14F9, 0x00061486
.long 0x7F0A14F9, 0x00061587
.long 0xD3CD8074, 0x05D21536
.long 0xD9BE0000, 0x0000825C
.long 0xD3CD8078, 0x05E21936
.long 0xD3CD807C, 0x05F21D36
.long 0xD3CD8080, 0x06020138
.long 0xD3CD8084, 0x06120538
.long 0xBF8C0F7D
.long 0x7F007162
.long 0xD3CD8088, 0x06220938
.long 0x7F0CACF9, 0x00040680
.long 0x7F0414F9, 0x00061486
.long 0x7F0414F9, 0x00061587
.long 0xD3CD808C, 0x06320D38
.long 0x7F0CACF9, 0x00050680
.long 0x7F0614F9, 0x00061486
.long 0x7F0614F9, 0x00061587
.long 0xD3CD8090, 0x06421138
.long 0x7F0CACF9, 0x00040681
.long 0x7F0814F9, 0x00061486
.long 0x7F0814F9, 0x00061587
.long 0xD3CD8094, 0x06521538
.long 0x7F0CACF9, 0x00050681
.long 0x7F0A14F9, 0x00061486
.long 0x7F0A14F9, 0x00061587
.long 0xD3CD8098, 0x06621938
.long 0xD9BE0400, 0x0000825C
.long 0xD3CD809C, 0x06721D38
.long 0xD3CD80A0, 0x0682013A
.long 0xD3CD80A4, 0x0692053A
	;; [unrolled: 24-line block ×4, first 2 shown]
.long 0xD3CD80F0, 0x07C2113E
.long 0xBF8C0F7A
.long 0xD89A0000, 0x0000685D
.long 0xD3CD80F4, 0x07D2153E
.long 0xD3CD80F8, 0x07E2193E
.long 0xD3CD80FC, 0x07F21D3E
.long 0xD3CD008C, 0x06320140
.long 0xD3CD0090, 0x06420540
.long 0xD3CD0094, 0x06520940
.long 0xD3CD0098, 0x06620D40
.long 0xD3CD009C, 0x06721140
.long 0xD3CD00A0, 0x06821540
.long 0xBF8C0F79
.long 0xD89A0220, 0x00006A5D
.long 0xD3CD00A4, 0x06921940
.long 0xD3CD00A8, 0x06A21D40
.long 0xD3CD00AC, 0x06B20142
.long 0xD3CD00B0, 0x06C20542
.long 0xD3CD00B4, 0x06D20942
.long 0xD3CD00B8, 0x06E20D42
.long 0xD3CD00BC, 0x06F21142
.long 0xD3CD00C0, 0x07021542
	;; [unrolled: 11-line block ×3, first 2 shown]
.long 0xD3CD00E8, 0x07A21D44
.long 0xBF8C0F77
.long 0xD89A0660, 0x00006E5D
.long 0xBF8CC87F
.long 0xD1ED0000, 0x00E2291C
.long 0xD1ED0001, 0x00E2492C
	;; [unrolled: 1-line block ×25, first 2 shown]
.long 0xBF8C0F76
.long 0xD89A0880, 0x0000705D
.long 0xD3CD8024, 0x04920548
.long 0xD3CD8028, 0x04A20948
.long 0xD3CD802C, 0x04B20D48
.long 0xD3CD8030, 0x04C21148
.long 0xD3CD8034, 0x04D21548
.long 0xD3CD8038, 0x04E21948
.long 0xD3CD803C, 0x04F21D48
.long 0xD3CD8040, 0x0502014A
.long 0xD3CD8044, 0x0512054A
.long 0xBF8C0F75
.long 0xD89A0AA0, 0x0000725D
.long 0xD3CD8048, 0x0522094A
.long 0xD3CD804C, 0x05320D4A
.long 0xD3CD8050, 0x0542114A
.long 0xD3CD8054, 0x0552154A
.long 0xD3CD8058, 0x0562194A
.long 0xD3CD805C, 0x05721D4A
.long 0xD3CD8060, 0x0582014C
.long 0xD3CD8064, 0x0592054C
.long 0xD3CD8068, 0x05A2094C
	;; [unrolled: 11-line block ×3, first 2 shown]
.long 0xD3CD8090, 0x0642114E
.long 0xBF8C0F73
.long 0xD89A0EE0, 0x0000765D
.long 0xD3CD8094, 0x0652154E
.long 0xD3CD8098, 0x0662194E
.long 0xD3CD809C, 0x06721D4E
.long 0xD3CD80A0, 0x06820150
.long 0xD3CD80A4, 0x06920550
.long 0xD3CD80A8, 0x06A20950
.long 0xD3CD80AC, 0x06B20D50
.long 0xD3CD80B0, 0x06C21150
.long 0xD3CD80B4, 0x06D21550
.long 0xBF8C0F72
.long 0xD89A1100, 0x0000785D
.long 0xD3CD80B8, 0x06E21950
.long 0xD3CD80BC, 0x06F21D50
.long 0xD3CD80C0, 0x07020152
.long 0xD3CD80C4, 0x07120552
.long 0xD3CD80C8, 0x07220952
.long 0xD3CD80CC, 0x07320D52
.long 0xD3CD80D0, 0x07421152
.long 0xD3CD80D4, 0x07521552
	;; [unrolled: 11-line block ×3, first 2 shown]
.long 0xD3CD80FC, 0x07F21D54
.long 0xBF8C0F70
.long 0xD89A1540, 0x00007C5D
.long 0xD3CD008C, 0x06320156
	;; [unrolled: 1-line block ×4, first 2 shown]
.long 0xBF8CC07F
.long 0xBF8A0000
.long 0xD3CD0098, 0x06620D56
.long 0xD9FE0000, 0x1000007E
	;; [unrolled: 1-line block ×36, first 2 shown]
.long 0xBF8CC07F
.long 0xD1ED0000, 0x00E22118
.long 0xD1ED0001, 0x00E24128
	;; [unrolled: 1-line block ×117, first 2 shown]
.long 0xBF8CC07F
.long 0xBF8A0000
.long 0xD3CD00E4, 0x07921944
.long 0xD3CD00E8, 0x07A21D44
.long 0xBF8CC07F
.long 0xD1ED0000, 0x00E2291C
.long 0xD1ED0001, 0x00E2492C
	;; [unrolled: 1-line block ×104, first 2 shown]
.long 0x8605179F
.long 0xBF068005
.long 0xBE880080
.long 0xBF85034C
.long 0xE0801000, 0x800B605E
.long 0xE0801001, 0x800B005E
.long 0xE0841002, 0x800B015E
.long 0xE0841003, 0x800B025E
.long 0xE0801004, 0x800B615E
.long 0xE0801005, 0x800B045E
.long 0xE0841006, 0x800B055E
.long 0xE0841007, 0x800B065E
.long 0xBF8C0F76
.long 0x24000088
.long 0x28C00160
.long 0xBF8C0F75
.long 0x28C00360
.long 0xBF8C0F74
.long 0x24040488
.long 0x28C00560
.long 0xBF8C0F72
.long 0x24080888
.long 0x28C20961
.long 0xBF8C0F71
.long 0x28C20B61
.long 0xBF8C0F70
.long 0x240C0C88
.long 0x28C20D61
.long 0xE0801000, 0x3A0B625E
.long 0xE0801001, 0x3A0B005E
.long 0xE0841002, 0x3A0B015E
.long 0xE0841003, 0x3A0B025E
.long 0xE0801004, 0x3A0B635E
.long 0xE0801005, 0x3A0B045E
.long 0xE0841006, 0x3A0B055E
.long 0xE0841007, 0x3A0B065E
.long 0xBF8C0F76
.long 0x24000088
.long 0x28C40162
.long 0xBF8C0F75
.long 0x28C40362
.long 0xBF8C0F74
.long 0x24040488
.long 0x28C40562
.long 0xBF8C0F72
.long 0x24080888
.long 0x28C60963
.long 0xBF8C0F71
	;; [unrolled: 24-line block ×4, first 2 shown]
.long 0x28CE0B67
.long 0xBF8C0F70
	;; [unrolled: 1-line block ×4, first 2 shown]
.long 0xE0901000, 0x800C685F
.long 0xE0941002, 0x800C005F
.long 0xBF8C0F70
.long 0x28D00168
.long 0xE0901004, 0x800C695F
.long 0xE0941006, 0x800C005F
.long 0xBF8C0F70
.long 0x28D20169
	;; [unrolled: 4-line block ×22, first 2 shown]
.long 0xBF8C0F70
.long 0xBF8A0000
	;; [unrolled: 1-line block ×3, first 2 shown]
.long 0x7F0CACF9, 0x00040680
.long 0x7F0414F9, 0x00061486
.long 0x7F0414F9, 0x00061587
.long 0x7F0CACF9, 0x00050680
.long 0x7F0614F9, 0x00061486
.long 0x7F0614F9, 0x00061587
.long 0x7F0CACF9, 0x00040681
.long 0x7F0814F9, 0x00061486
.long 0x7F0814F9, 0x00061587
.long 0x7F0CACF9, 0x00050681
.long 0x7F0A14F9, 0x00061486
.long 0x7F0A14F9, 0x00061587
.long 0xD9BE0000, 0x0000825C
.long 0x7F007162
.long 0x7F0CACF9, 0x00040680
.long 0x7F0414F9, 0x00061486
.long 0x7F0414F9, 0x00061587
.long 0x7F0CACF9, 0x00050680
.long 0x7F0614F9, 0x00061486
.long 0x7F0614F9, 0x00061587
.long 0x7F0CACF9, 0x00040681
.long 0x7F0814F9, 0x00061486
.long 0x7F0814F9, 0x00061587
.long 0x7F0CACF9, 0x00050681
.long 0x7F0A14F9, 0x00061486
.long 0x7F0A14F9, 0x00061587
.long 0xD9BE0400, 0x0000825C
.long 0x7F007164
	;; [unrolled: 14-line block ×3, first 2 shown]
.long 0x7F0CACF9, 0x00040680
.long 0x7F0414F9, 0x00061486
	;; [unrolled: 1-line block ×24, first 2 shown]
.long 0xBF8CC07F
.long 0xBF8A0000
.long 0xD9FE0000, 0x1000007E
.long 0xD9FE0200, 0x1800007E
	;; [unrolled: 1-line block ×16, first 2 shown]
.long 0x32FCFC47
.long 0xBEC700A0
	;; [unrolled: 1-line block ×4, first 2 shown]
.long 0xD1ED0000, 0x00E22118
.long 0xD1ED0001, 0x00E24128
	;; [unrolled: 1-line block ×16, first 2 shown]
.long 0x26B910BF
.long 0x20B8B884
	;; [unrolled: 1-line block ×3, first 2 shown]
.long 0xD0C60048, 0x00000B5C
.long 0xD1000000, 0x01210100
	;; [unrolled: 1-line block ×39, first 2 shown]
.long 0x6AB8B805
.long 0xD0C10048, 0x0001095C
.long 0x864A8305
.long 0x80CA4A84
	;; [unrolled: 1-line block ×3, first 2 shown]
.long 0xD28F005E, 0x0002004A
.long 0xD1000000, 0x0122BD00
	;; [unrolled: 1-line block ×57, first 2 shown]
.long 0xBF800001
.long 0xD3CD8000, 0x04020130
.long 0xD3CD8004, 0x04120530
	;; [unrolled: 1-line block ×88, first 2 shown]
.long 0x81859005
.long 0x80089008
	;; [unrolled: 1-line block ×6, first 2 shown]
.long 0xC00E0B00, 0x00000058
.long 0xC00A0D00, 0x00000078
	;; [unrolled: 1-line block ×3, first 2 shown]
.long 0xBF82000A
.long 0xC00A0B03, 0x00000070
.long 0xC00A0C03, 0x00000090
	;; [unrolled: 1-line block ×5, first 2 shown]
.long 0x20091086
.long 0x200A0881
.long 0xD2850005, 0x00020A90
.long 0x260310BF
.long 0x20020284
	;; [unrolled: 1-line block ×3, first 2 shown]
.long 0xD1FE0001, 0x02020305
.long 0xD2850002, 0x00004501
	;; [unrolled: 1-line block ×3, first 2 shown]
.long 0x26000881
.long 0xD2850000, 0x00020090
.long 0x260B108F
.long 0xD1FE0000, 0x020E0105
.long 0x922B02FF, 0x00000100
.long 0x6800002B
.long 0x922B03FF, 0x00000180
.long 0x6802022B
.long 0xBF8CC07F
.long 0xBEAB00F2
.long 0xBF12802C
.long 0xBF850002
.long 0xC0020AD6, 0x00000000
.long 0xBEB900F2
.long 0xBF12802E
	;; [unrolled: 1-line block ×3, first 2 shown]
.long 0xC0020E57, 0x00000000
.long 0xBEBC0030
.long 0xBEBD0031
.long 0xBEBF00FF, 0x00020000
.long 0xBF128030
.long 0xBF840002
	;; [unrolled: 1-line block ×12, first 2 shown]
.long 0xBEC300FF, 0x00020000
.long 0xBF128032
.long 0xBF840002
	;; [unrolled: 1-line block ×8, first 2 shown]
.long 0x923A02FF, 0x00000100
.long 0x6811103A
.long 0x923A0435
	;; [unrolled: 1-line block ×4, first 2 shown]
.long 0xE0501000, 0x80100408
.long 0x24111082
.long 0xBF8C0F70
.long 0xBF8A0000
.long 0xD81A0000, 0x00000408
.long 0xBF820012
.long 0xB4B40004
.long 0xBF850010
.long 0x92424282
.long 0x923A02FF, 0x00000100
.long 0x6811103A
	;; [unrolled: 5-line block ×4, first 2 shown]
.long 0x7E080228
.long 0xBF8CC07F
.long 0xD1050004, 0x00005704
.long 0xD1050004, 0x00007304
.long 0xBF800000
.long 0x7E500504
	;; [unrolled: 1-line block ×19, first 2 shown]
.long 0x812B84FF, 0x000123D0
.long 0x803A2B3A
.long 0x823B803B
.long 0xBF820030
.long 0xBEBA1C00
.long 0x812B84FF, 0x000123BC
.long 0x803A2B3A
.long 0x823B803B
.long 0xBF82002A
.long 0xBEBA1C00
.long 0x812B84FF, 0x000123E8
.long 0x803A2B3A
.long 0x823B803B
.long 0xBF820024
.long 0xBEBA1C00
.long 0x812B84FF, 0x00012454
.long 0x803A2B3A
.long 0x823B803B
.long 0xBF82001E
.long 0xBEBA1C00
.long 0x812B84FF, 0x00012640
.long 0x803A2B3A
.long 0x823B803B
.long 0xBF820018
.long 0xBEBA1C00
.long 0x812B84FF, 0x000126AC
.long 0x803A2B3A
.long 0x823B803B
.long 0xBF820012
.long 0xBEBA1C00
.long 0x812B84FF, 0x000126D8
.long 0x803A2B3A
.long 0x823B803B
.long 0xBF82000C
.long 0xBEBA1C00
.long 0x812B84FF, 0x000127A4
.long 0x803A2B3A
.long 0x823B803B
.long 0xBF820006
.long 0xBEBA1C00
.long 0x812B84FF, 0x000128F0
.long 0x803A2B3A
.long 0x823B803B
.long 0xBF820000
.long 0xB4290000
.long 0xBF841FA6
.long 0x864614FF, 0x000000FF
.long 0x804709C1
.long 0xBF094702
	;; [unrolled: 1-line block ×6, first 2 shown]
.long 0x924815FF, 0x00000174
.long 0x8EC89048
.long 0x9247FF15, 0x00005D18
.long 0x80484847
.long 0x82498049
	;; [unrolled: 1-line block ×4, first 2 shown]
.long 0x9248FF47, 0x00000160
.long 0x80C64815
.long 0x80470AC1
	;; [unrolled: 1-line block ×6, first 2 shown]
.long 0x924602FF, 0x00000100
.long 0xD135000F, 0x00008D00
.long 0x241E1E82
.long 0xBF8CC07F
	;; [unrolled: 1-line block ×3, first 2 shown]
.long 0xD9FE0000, 0x1800000F
.long 0xD9FE0010, 0x1C00000F
.long 0x24200082
.long 0xE05C1000, 0x800F2010
.long 0xE05C1010, 0x800F2410
	;; [unrolled: 1-line block ×35, first 2 shown]
.long 0xBF800001
.long 0x0A505028
.long 0x0A525228
.long 0x0A545428
.long 0x0A565628
.long 0x0A585828
.long 0x0A5A5A28
.long 0x0A5C5C28
.long 0x0A5E5E28
.long 0x0A606028
.long 0x0A626228
.long 0x0A646428
.long 0x0A666628
.long 0x0A686828
.long 0x0A6A6A28
.long 0x0A6C6C28
.long 0x0A6E6E28
.long 0x0A707028
.long 0x0A727228
.long 0x0A747428
.long 0x0A767628
.long 0x0A787828
.long 0x0A7A7A28
.long 0x0A7C7C28
.long 0x0A7E7E28
.long 0x0A808028
.long 0x0A828228
.long 0x0A848428
.long 0x0A868628
.long 0x0A888828
.long 0x0A8A8A28
.long 0x0A8C8C28
.long 0x0A8E8E28
.long 0xBF8C0000
.long 0xD0CC0030, 0x0001003E
.long 0xD1000020, 0x00C240F2
	;; [unrolled: 1-line block ×20, first 2 shown]
.long 0xBEC41E3A
.long 0x7E500304
.long 0x7E520305
.long 0x7E540306
.long 0x7E560307
.long 0x7E580308
.long 0x7E5A0309
.long 0x7E5C030A
.long 0x7E5E030B
.long 0xE07C1000, 0x8003280D
.long 0xE07C1010, 0x80032C0D
.long 0xD0CC0030, 0x0001003E
.long 0xD1000020, 0x00C240F2
.long 0xD1000021, 0x00C242F2
.long 0xD3B14030, 0x18026120
.long 0xD0CC0030, 0x0001003E
.long 0xD1000022, 0x00C244F2
.long 0xD1000023, 0x00C246F2
.long 0xD3B14032, 0x18026522
.long 0xD0CC0030, 0x0001003E
.long 0xD1000024, 0x00C248F2
.long 0xD1000025, 0x00C24AF2
.long 0xD3B14034, 0x18026924
.long 0xD0CC0030, 0x0001003E
.long 0xD1000026, 0x00C24CF2
.long 0xD1000027, 0x00C24EF2
.long 0xD3B14036, 0x18026D26
.long 0xD3B24004, 0x18026118
.long 0xD3B24006, 0x1802651A
.long 0xD3B24008, 0x1802691C
.long 0xD3B2400A, 0x18026D1E
.long 0xBEC41E3A
.long 0x7E600304
.long 0x7E620305
.long 0x7E640306
.long 0x7E660307
.long 0x7E680308
.long 0x7E6A0309
.long 0x7E6C030A
.long 0x7E6E030B
.long 0x8E468220
.long 0x800C460C
.long 0x820D800D
.long 0xE07C1000, 0x8003300D
.long 0xE07C1010, 0x8003340D
.long 0xD0CC0030, 0x0001003E
.long 0xD1000020, 0x00C240F2
.long 0xD1000021, 0x00C242F2
.long 0xD3B14038, 0x18027120
.long 0xD0CC0030, 0x0001003E
.long 0xD1000022, 0x00C244F2
.long 0xD1000023, 0x00C246F2
.long 0xD3B1403A, 0x18027522
.long 0xD0CC0030, 0x0001003E
.long 0xD1000024, 0x00C248F2
.long 0xD1000025, 0x00C24AF2
.long 0xD3B1403C, 0x18027924
.long 0xD0CC0030, 0x0001003E
.long 0xD1000026, 0x00C24CF2
.long 0xD1000027, 0x00C24EF2
.long 0xD3B1403E, 0x18027D26
.long 0xD3B24004, 0x18027118
.long 0xD3B24006, 0x1802751A
.long 0xD3B24008, 0x1802791C
.long 0xD3B2400A, 0x18027D1E
.long 0xBEC41E3A
.long 0x7E700304
.long 0x7E720305
	;; [unrolled: 34-line block ×3, first 2 shown]
.long 0x7E840306
.long 0x7E860307
	;; [unrolled: 1-line block ×9, first 2 shown]
.long 0xE07C1000, 0x8003400D
.long 0xE07C1010, 0x8003440D
.long 0xBF800000
.long 0x924602FF, 0x00000100
.long 0xD135000F, 0x00008D00
.long 0x241E1E82
.long 0xD9FE0000, 0x1800000F
.long 0xD9FE0010, 0x1C00000F
	;; [unrolled: 1-line block ×36, first 2 shown]
.long 0xBF800001
.long 0x0A505028
.long 0x0A525228
.long 0x0A545428
.long 0x0A565628
.long 0x0A585828
.long 0x0A5A5A28
.long 0x0A5C5C28
.long 0x0A5E5E28
.long 0x0A606028
.long 0x0A626228
.long 0x0A646428
.long 0x0A666628
.long 0x0A686828
.long 0x0A6A6A28
.long 0x0A6C6C28
.long 0x0A6E6E28
.long 0x0A707028
.long 0x0A727228
.long 0x0A747428
.long 0x0A767628
.long 0x0A787828
.long 0x0A7A7A28
.long 0x0A7C7C28
.long 0x0A7E7E28
.long 0x0A808028
.long 0x0A828228
.long 0x0A848428
.long 0x0A868628
.long 0x0A888828
.long 0x0A8A8A28
.long 0x0A8C8C28
.long 0x0A8E8E28
.long 0xBF8C0000
.long 0xD0CC0030, 0x0001003E
.long 0xD1000020, 0x00C240F2
	;; [unrolled: 1-line block ×20, first 2 shown]
.long 0xBEC41E3A
.long 0x7E500304
	;; [unrolled: 1-line block ×9, first 2 shown]
.long 0x9246FF20, 0x00000074
.long 0x800C460C
.long 0x820D800D
.long 0xE07C1000, 0x8003280D
.long 0xE07C1010, 0x80032C0D
.long 0xD0CC0030, 0x0001003E
.long 0xD1000020, 0x00C240F2
.long 0xD1000021, 0x00C242F2
.long 0xD3B14030, 0x18026120
.long 0xD0CC0030, 0x0001003E
.long 0xD1000022, 0x00C244F2
.long 0xD1000023, 0x00C246F2
.long 0xD3B14032, 0x18026522
.long 0xD0CC0030, 0x0001003E
.long 0xD1000024, 0x00C248F2
.long 0xD1000025, 0x00C24AF2
.long 0xD3B14034, 0x18026924
.long 0xD0CC0030, 0x0001003E
.long 0xD1000026, 0x00C24CF2
.long 0xD1000027, 0x00C24EF2
.long 0xD3B14036, 0x18026D26
.long 0xD3B24004, 0x18026118
.long 0xD3B24006, 0x1802651A
.long 0xD3B24008, 0x1802691C
.long 0xD3B2400A, 0x18026D1E
.long 0xBEC41E3A
.long 0x7E600304
.long 0x7E620305
.long 0x7E640306
.long 0x7E660307
.long 0x7E680308
.long 0x7E6A0309
.long 0x7E6C030A
.long 0x7E6E030B
.long 0x8E468220
.long 0x800C460C
.long 0x820D800D
.long 0xE07C1000, 0x8003300D
.long 0xE07C1010, 0x8003340D
.long 0xD0CC0030, 0x0001003E
.long 0xD1000020, 0x00C240F2
.long 0xD1000021, 0x00C242F2
.long 0xD3B14038, 0x18027120
.long 0xD0CC0030, 0x0001003E
.long 0xD1000022, 0x00C244F2
.long 0xD1000023, 0x00C246F2
.long 0xD3B1403A, 0x18027522
.long 0xD0CC0030, 0x0001003E
.long 0xD1000024, 0x00C248F2
.long 0xD1000025, 0x00C24AF2
.long 0xD3B1403C, 0x18027924
.long 0xD0CC0030, 0x0001003E
.long 0xD1000026, 0x00C24CF2
.long 0xD1000027, 0x00C24EF2
.long 0xD3B1403E, 0x18027D26
.long 0xD3B24004, 0x18027118
.long 0xD3B24006, 0x1802751A
.long 0xD3B24008, 0x1802791C
.long 0xD3B2400A, 0x18027D1E
.long 0xBEC41E3A
.long 0x7E700304
.long 0x7E720305
.long 0x7E740306
.long 0x7E760307
.long 0x7E780308
.long 0x7E7A0309
.long 0x7E7C030A
.long 0x7E7E030B
.long 0x8E468220
	;; [unrolled: 34-line block ×3, first 2 shown]
.long 0x800C460C
.long 0x820D800D
.long 0xE07C1000, 0x8003400D
.long 0xE07C1010, 0x8003440D
.long 0xBF800000
.long 0x924602FF, 0x00000100
.long 0xD135000F, 0x00008D00
	;; [unrolled: 3-line block ×3, first 2 shown]
.long 0xE05C1000, 0x800F2010
.long 0xE05C1010, 0x800F2410
.long 0xD3D84028, 0x18000140
.long 0xD3D84029, 0x18000144
.long 0xD3D8402A, 0x18000148
.long 0xD3D8402B, 0x1800014C
.long 0xD3D8402C, 0x18000150
.long 0xD3D8402D, 0x18000154
.long 0xD3D8402E, 0x18000158
.long 0xD3D8402F, 0x1800015C
.long 0xD3D84030, 0x18000141
.long 0xD3D84031, 0x18000145
.long 0xD3D84032, 0x18000149
.long 0xD3D84033, 0x1800014D
.long 0xD3D84034, 0x18000151
.long 0xD3D84035, 0x18000155
.long 0xD3D84036, 0x18000159
.long 0xD3D84037, 0x1800015D
.long 0xD3D84038, 0x18000142
.long 0xD3D84039, 0x18000146
.long 0xD3D8403A, 0x1800014A
.long 0xD3D8403B, 0x1800014E
.long 0xD3D8403C, 0x18000152
.long 0xD3D8403D, 0x18000156
.long 0xD3D8403E, 0x1800015A
.long 0xD3D8403F, 0x1800015E
.long 0xD3D84040, 0x18000143
.long 0xD3D84041, 0x18000147
.long 0xD3D84042, 0x1800014B
.long 0xD3D84043, 0x1800014F
.long 0xD3D84044, 0x18000153
.long 0xD3D84045, 0x18000157
.long 0xD3D84046, 0x1800015B
.long 0xD3D84047, 0x1800015F
.long 0xBF800001
.long 0x0A505028
	;; [unrolled: 1-line block ×34, first 2 shown]
.long 0xD0CC0030, 0x0001003E
.long 0xD1000020, 0x00C240F2
	;; [unrolled: 1-line block ×20, first 2 shown]
.long 0xBEC41E3A
.long 0x7E500304
	;; [unrolled: 1-line block ×9, first 2 shown]
.long 0x9246FF20, 0x00000074
.long 0x800C460C
.long 0x820D800D
.long 0xE07C1000, 0x8003280D
.long 0xE07C1010, 0x80032C0D
.long 0xD0CC0030, 0x0001003E
.long 0xD1000020, 0x00C240F2
.long 0xD1000021, 0x00C242F2
.long 0xD3B14030, 0x18026120
.long 0xD0CC0030, 0x0001003E
.long 0xD1000022, 0x00C244F2
.long 0xD1000023, 0x00C246F2
.long 0xD3B14032, 0x18026522
.long 0xD0CC0030, 0x0001003E
.long 0xD1000024, 0x00C248F2
.long 0xD1000025, 0x00C24AF2
.long 0xD3B14034, 0x18026924
.long 0xD0CC0030, 0x0001003E
.long 0xD1000026, 0x00C24CF2
.long 0xD1000027, 0x00C24EF2
.long 0xD3B14036, 0x18026D26
.long 0xD3B24004, 0x18026118
.long 0xD3B24006, 0x1802651A
.long 0xD3B24008, 0x1802691C
.long 0xD3B2400A, 0x18026D1E
.long 0xBEC41E3A
.long 0x7E600304
.long 0x7E620305
.long 0x7E640306
.long 0x7E660307
.long 0x7E680308
.long 0x7E6A0309
.long 0x7E6C030A
.long 0x7E6E030B
.long 0x8E468220
.long 0x800C460C
.long 0x820D800D
.long 0xE07C1000, 0x8003300D
.long 0xE07C1010, 0x8003340D
.long 0xD0CC0030, 0x0001003E
.long 0xD1000020, 0x00C240F2
.long 0xD1000021, 0x00C242F2
.long 0xD3B14038, 0x18027120
.long 0xD0CC0030, 0x0001003E
.long 0xD1000022, 0x00C244F2
.long 0xD1000023, 0x00C246F2
.long 0xD3B1403A, 0x18027522
.long 0xD0CC0030, 0x0001003E
.long 0xD1000024, 0x00C248F2
.long 0xD1000025, 0x00C24AF2
.long 0xD3B1403C, 0x18027924
.long 0xD0CC0030, 0x0001003E
.long 0xD1000026, 0x00C24CF2
.long 0xD1000027, 0x00C24EF2
.long 0xD3B1403E, 0x18027D26
.long 0xD3B24004, 0x18027118
.long 0xD3B24006, 0x1802751A
.long 0xD3B24008, 0x1802791C
.long 0xD3B2400A, 0x18027D1E
.long 0xBEC41E3A
.long 0x7E700304
.long 0x7E720305
.long 0x7E740306
.long 0x7E760307
.long 0x7E780308
.long 0x7E7A0309
.long 0x7E7C030A
.long 0x7E7E030B
.long 0x8E468220
	;; [unrolled: 34-line block ×3, first 2 shown]
.long 0x800C460C
.long 0x820D800D
.long 0xE07C1000, 0x8003400D
.long 0xE07C1010, 0x8003440D
.long 0xBF800000
.long 0x924602FF, 0x00000100
.long 0xD135000F, 0x00008D00
	;; [unrolled: 3-line block ×3, first 2 shown]
.long 0xE05C1000, 0x800F2010
.long 0xE05C1010, 0x800F2410
.long 0xD3D84028, 0x18000160
.long 0xD3D84029, 0x18000164
.long 0xD3D8402A, 0x18000168
.long 0xD3D8402B, 0x1800016C
.long 0xD3D8402C, 0x18000170
.long 0xD3D8402D, 0x18000174
.long 0xD3D8402E, 0x18000178
.long 0xD3D8402F, 0x1800017C
.long 0xD3D84030, 0x18000161
.long 0xD3D84031, 0x18000165
.long 0xD3D84032, 0x18000169
.long 0xD3D84033, 0x1800016D
.long 0xD3D84034, 0x18000171
.long 0xD3D84035, 0x18000175
.long 0xD3D84036, 0x18000179
.long 0xD3D84037, 0x1800017D
.long 0xD3D84038, 0x18000162
.long 0xD3D84039, 0x18000166
.long 0xD3D8403A, 0x1800016A
.long 0xD3D8403B, 0x1800016E
.long 0xD3D8403C, 0x18000172
.long 0xD3D8403D, 0x18000176
.long 0xD3D8403E, 0x1800017A
.long 0xD3D8403F, 0x1800017E
.long 0xD3D84040, 0x18000163
.long 0xD3D84041, 0x18000167
.long 0xD3D84042, 0x1800016B
.long 0xD3D84043, 0x1800016F
.long 0xD3D84044, 0x18000173
.long 0xD3D84045, 0x18000177
.long 0xD3D84046, 0x1800017B
.long 0xD3D84047, 0x1800017F
.long 0xBF800001
.long 0x0A505028
	;; [unrolled: 1-line block ×34, first 2 shown]
.long 0xD0CC0030, 0x0001003E
.long 0xD1000020, 0x00C240F2
	;; [unrolled: 1-line block ×20, first 2 shown]
.long 0xBEC41E3A
.long 0x7E500304
	;; [unrolled: 1-line block ×9, first 2 shown]
.long 0x9246FF20, 0x00000074
.long 0x800C460C
.long 0x820D800D
.long 0xE07C1000, 0x8003280D
.long 0xE07C1010, 0x80032C0D
.long 0xD0CC0030, 0x0001003E
.long 0xD1000020, 0x00C240F2
.long 0xD1000021, 0x00C242F2
.long 0xD3B14030, 0x18026120
.long 0xD0CC0030, 0x0001003E
.long 0xD1000022, 0x00C244F2
.long 0xD1000023, 0x00C246F2
.long 0xD3B14032, 0x18026522
.long 0xD0CC0030, 0x0001003E
.long 0xD1000024, 0x00C248F2
.long 0xD1000025, 0x00C24AF2
.long 0xD3B14034, 0x18026924
.long 0xD0CC0030, 0x0001003E
.long 0xD1000026, 0x00C24CF2
.long 0xD1000027, 0x00C24EF2
.long 0xD3B14036, 0x18026D26
.long 0xD3B24004, 0x18026118
.long 0xD3B24006, 0x1802651A
.long 0xD3B24008, 0x1802691C
.long 0xD3B2400A, 0x18026D1E
.long 0xBEC41E3A
.long 0x7E600304
.long 0x7E620305
.long 0x7E640306
.long 0x7E660307
.long 0x7E680308
.long 0x7E6A0309
.long 0x7E6C030A
.long 0x7E6E030B
.long 0x8E468220
.long 0x800C460C
.long 0x820D800D
.long 0xE07C1000, 0x8003300D
.long 0xE07C1010, 0x8003340D
.long 0xD0CC0030, 0x0001003E
.long 0xD1000020, 0x00C240F2
.long 0xD1000021, 0x00C242F2
.long 0xD3B14038, 0x18027120
.long 0xD0CC0030, 0x0001003E
.long 0xD1000022, 0x00C244F2
.long 0xD1000023, 0x00C246F2
.long 0xD3B1403A, 0x18027522
.long 0xD0CC0030, 0x0001003E
.long 0xD1000024, 0x00C248F2
.long 0xD1000025, 0x00C24AF2
.long 0xD3B1403C, 0x18027924
.long 0xD0CC0030, 0x0001003E
.long 0xD1000026, 0x00C24CF2
.long 0xD1000027, 0x00C24EF2
.long 0xD3B1403E, 0x18027D26
.long 0xD3B24004, 0x18027118
.long 0xD3B24006, 0x1802751A
.long 0xD3B24008, 0x1802791C
.long 0xD3B2400A, 0x18027D1E
.long 0xBEC41E3A
.long 0x7E700304
.long 0x7E720305
.long 0x7E740306
.long 0x7E760307
.long 0x7E780308
.long 0x7E7A0309
.long 0x7E7C030A
.long 0x7E7E030B
.long 0x8E468220
	;; [unrolled: 34-line block ×3, first 2 shown]
.long 0x800C460C
.long 0x820D800D
.long 0xE07C1000, 0x8003400D
.long 0xE07C1010, 0x8003440D
.long 0xBF800000
.long 0x924602FF, 0x00000100
.long 0xD135000F, 0x00008D00
	;; [unrolled: 3-line block ×3, first 2 shown]
.long 0xE05C1000, 0x800F2010
.long 0xE05C1010, 0x800F2410
	;; [unrolled: 1-line block ×34, first 2 shown]
.long 0xBF800001
.long 0x0A505028
	;; [unrolled: 1-line block ×34, first 2 shown]
.long 0xD0CC0030, 0x0001003E
.long 0xD1000020, 0x00C240F2
.long 0xD1000021, 0x00C242F2
.long 0xD3B14028, 0x18025120
.long 0xD0CC0030, 0x0001003E
.long 0xD1000022, 0x00C244F2
.long 0xD1000023, 0x00C246F2
.long 0xD3B1402A, 0x18025522
.long 0xD0CC0030, 0x0001003E
.long 0xD1000024, 0x00C248F2
.long 0xD1000025, 0x00C24AF2
.long 0xD3B1402C, 0x18025924
.long 0xD0CC0030, 0x0001003E
.long 0xD1000026, 0x00C24CF2
.long 0xD1000027, 0x00C24EF2
.long 0xD3B1402E, 0x18025D26
.long 0xD3B24004, 0x18025118
.long 0xD3B24006, 0x1802551A
.long 0xD3B24008, 0x1802591C
.long 0xD3B2400A, 0x18025D1E
.long 0xBEC41E3A
.long 0x7E500304
	;; [unrolled: 1-line block ×9, first 2 shown]
.long 0x9246FF20, 0x00000074
.long 0x800C460C
.long 0x820D800D
.long 0xE07C1000, 0x8003280D
.long 0xE07C1010, 0x80032C0D
.long 0xD0CC0030, 0x0001003E
.long 0xD1000020, 0x00C240F2
.long 0xD1000021, 0x00C242F2
.long 0xD3B14030, 0x18026120
.long 0xD0CC0030, 0x0001003E
.long 0xD1000022, 0x00C244F2
.long 0xD1000023, 0x00C246F2
.long 0xD3B14032, 0x18026522
.long 0xD0CC0030, 0x0001003E
.long 0xD1000024, 0x00C248F2
.long 0xD1000025, 0x00C24AF2
.long 0xD3B14034, 0x18026924
.long 0xD0CC0030, 0x0001003E
.long 0xD1000026, 0x00C24CF2
.long 0xD1000027, 0x00C24EF2
.long 0xD3B14036, 0x18026D26
.long 0xD3B24004, 0x18026118
.long 0xD3B24006, 0x1802651A
.long 0xD3B24008, 0x1802691C
.long 0xD3B2400A, 0x18026D1E
.long 0xBEC41E3A
.long 0x7E600304
.long 0x7E620305
.long 0x7E640306
.long 0x7E660307
.long 0x7E680308
.long 0x7E6A0309
.long 0x7E6C030A
.long 0x7E6E030B
.long 0x8E468220
.long 0x800C460C
.long 0x820D800D
.long 0xE07C1000, 0x8003300D
.long 0xE07C1010, 0x8003340D
.long 0xD0CC0030, 0x0001003E
.long 0xD1000020, 0x00C240F2
.long 0xD1000021, 0x00C242F2
.long 0xD3B14038, 0x18027120
.long 0xD0CC0030, 0x0001003E
.long 0xD1000022, 0x00C244F2
.long 0xD1000023, 0x00C246F2
.long 0xD3B1403A, 0x18027522
.long 0xD0CC0030, 0x0001003E
.long 0xD1000024, 0x00C248F2
.long 0xD1000025, 0x00C24AF2
.long 0xD3B1403C, 0x18027924
.long 0xD0CC0030, 0x0001003E
.long 0xD1000026, 0x00C24CF2
.long 0xD1000027, 0x00C24EF2
.long 0xD3B1403E, 0x18027D26
.long 0xD3B24004, 0x18027118
.long 0xD3B24006, 0x1802751A
.long 0xD3B24008, 0x1802791C
.long 0xD3B2400A, 0x18027D1E
.long 0xBEC41E3A
.long 0x7E700304
.long 0x7E720305
.long 0x7E740306
.long 0x7E760307
.long 0x7E780308
.long 0x7E7A0309
.long 0x7E7C030A
.long 0x7E7E030B
.long 0x8E468220
	;; [unrolled: 34-line block ×3, first 2 shown]
.long 0x800C460C
.long 0x820D800D
.long 0xE07C1000, 0x8003400D
.long 0xE07C1010, 0x8003440D
.long 0xBF800000
.long 0x924602FF, 0x00000100
.long 0xD135000F, 0x00008D00
	;; [unrolled: 3-line block ×3, first 2 shown]
.long 0xE05C1000, 0x800F2010
.long 0xE05C1010, 0x800F2410
	;; [unrolled: 1-line block ×34, first 2 shown]
.long 0xBF800001
.long 0x0A505028
	;; [unrolled: 1-line block ×34, first 2 shown]
.long 0xD0CC0030, 0x0001003E
.long 0xD1000020, 0x00C240F2
.long 0xD1000021, 0x00C242F2
.long 0xD3B14028, 0x18025120
.long 0xD0CC0030, 0x0001003E
.long 0xD1000022, 0x00C244F2
.long 0xD1000023, 0x00C246F2
.long 0xD3B1402A, 0x18025522
.long 0xD0CC0030, 0x0001003E
.long 0xD1000024, 0x00C248F2
.long 0xD1000025, 0x00C24AF2
.long 0xD3B1402C, 0x18025924
.long 0xD0CC0030, 0x0001003E
.long 0xD1000026, 0x00C24CF2
.long 0xD1000027, 0x00C24EF2
.long 0xD3B1402E, 0x18025D26
.long 0xD3B24004, 0x18025118
.long 0xD3B24006, 0x1802551A
.long 0xD3B24008, 0x1802591C
.long 0xD3B2400A, 0x18025D1E
.long 0xBEC41E3A
.long 0x7E500304
	;; [unrolled: 1-line block ×9, first 2 shown]
.long 0x9246FF20, 0x00000074
.long 0x800C460C
.long 0x820D800D
.long 0xE07C1000, 0x8003280D
.long 0xE07C1010, 0x80032C0D
.long 0xD0CC0030, 0x0001003E
.long 0xD1000020, 0x00C240F2
.long 0xD1000021, 0x00C242F2
.long 0xD3B14030, 0x18026120
.long 0xD0CC0030, 0x0001003E
.long 0xD1000022, 0x00C244F2
.long 0xD1000023, 0x00C246F2
.long 0xD3B14032, 0x18026522
.long 0xD0CC0030, 0x0001003E
.long 0xD1000024, 0x00C248F2
.long 0xD1000025, 0x00C24AF2
.long 0xD3B14034, 0x18026924
.long 0xD0CC0030, 0x0001003E
.long 0xD1000026, 0x00C24CF2
.long 0xD1000027, 0x00C24EF2
.long 0xD3B14036, 0x18026D26
.long 0xD3B24004, 0x18026118
.long 0xD3B24006, 0x1802651A
.long 0xD3B24008, 0x1802691C
.long 0xD3B2400A, 0x18026D1E
.long 0xBEC41E3A
.long 0x7E600304
.long 0x7E620305
.long 0x7E640306
.long 0x7E660307
.long 0x7E680308
.long 0x7E6A0309
.long 0x7E6C030A
.long 0x7E6E030B
.long 0x8E468220
.long 0x800C460C
.long 0x820D800D
.long 0xE07C1000, 0x8003300D
.long 0xE07C1010, 0x8003340D
.long 0xD0CC0030, 0x0001003E
.long 0xD1000020, 0x00C240F2
.long 0xD1000021, 0x00C242F2
.long 0xD3B14038, 0x18027120
.long 0xD0CC0030, 0x0001003E
.long 0xD1000022, 0x00C244F2
.long 0xD1000023, 0x00C246F2
.long 0xD3B1403A, 0x18027522
.long 0xD0CC0030, 0x0001003E
.long 0xD1000024, 0x00C248F2
.long 0xD1000025, 0x00C24AF2
.long 0xD3B1403C, 0x18027924
.long 0xD0CC0030, 0x0001003E
.long 0xD1000026, 0x00C24CF2
.long 0xD1000027, 0x00C24EF2
.long 0xD3B1403E, 0x18027D26
.long 0xD3B24004, 0x18027118
.long 0xD3B24006, 0x1802751A
.long 0xD3B24008, 0x1802791C
.long 0xD3B2400A, 0x18027D1E
.long 0xBEC41E3A
.long 0x7E700304
.long 0x7E720305
.long 0x7E740306
.long 0x7E760307
.long 0x7E780308
.long 0x7E7A0309
.long 0x7E7C030A
.long 0x7E7E030B
.long 0x8E468220
	;; [unrolled: 34-line block ×3, first 2 shown]
.long 0x800C460C
.long 0x820D800D
.long 0xE07C1000, 0x8003400D
.long 0xE07C1010, 0x8003440D
.long 0xBF800000
.long 0x924602FF, 0x00000100
.long 0xD135000F, 0x00008D00
.long 0x241E1E82
.long 0xD9FE0000, 0x1800000F
.long 0xD9FE0010, 0x1C00000F
.long 0xE05C1000, 0x800F2010
.long 0xE05C1010, 0x800F2410
	;; [unrolled: 1-line block ×34, first 2 shown]
.long 0xBF800001
.long 0x0A505028
	;; [unrolled: 1-line block ×34, first 2 shown]
.long 0xD0CC0030, 0x0001003E
.long 0xD1000020, 0x00C240F2
	;; [unrolled: 1-line block ×20, first 2 shown]
.long 0xBEC41E3A
.long 0x7E500304
	;; [unrolled: 1-line block ×9, first 2 shown]
.long 0x9246FF20, 0x00000074
.long 0x800C460C
.long 0x820D800D
.long 0xE07C1000, 0x8003280D
.long 0xE07C1010, 0x80032C0D
.long 0xD0CC0030, 0x0001003E
.long 0xD1000020, 0x00C240F2
.long 0xD1000021, 0x00C242F2
.long 0xD3B14030, 0x18026120
.long 0xD0CC0030, 0x0001003E
.long 0xD1000022, 0x00C244F2
.long 0xD1000023, 0x00C246F2
.long 0xD3B14032, 0x18026522
.long 0xD0CC0030, 0x0001003E
.long 0xD1000024, 0x00C248F2
.long 0xD1000025, 0x00C24AF2
.long 0xD3B14034, 0x18026924
.long 0xD0CC0030, 0x0001003E
.long 0xD1000026, 0x00C24CF2
.long 0xD1000027, 0x00C24EF2
.long 0xD3B14036, 0x18026D26
.long 0xD3B24004, 0x18026118
.long 0xD3B24006, 0x1802651A
.long 0xD3B24008, 0x1802691C
.long 0xD3B2400A, 0x18026D1E
.long 0xBEC41E3A
.long 0x7E600304
.long 0x7E620305
.long 0x7E640306
.long 0x7E660307
.long 0x7E680308
.long 0x7E6A0309
.long 0x7E6C030A
.long 0x7E6E030B
.long 0x8E468220
.long 0x800C460C
.long 0x820D800D
.long 0xE07C1000, 0x8003300D
.long 0xE07C1010, 0x8003340D
.long 0xD0CC0030, 0x0001003E
.long 0xD1000020, 0x00C240F2
.long 0xD1000021, 0x00C242F2
.long 0xD3B14038, 0x18027120
.long 0xD0CC0030, 0x0001003E
.long 0xD1000022, 0x00C244F2
.long 0xD1000023, 0x00C246F2
.long 0xD3B1403A, 0x18027522
.long 0xD0CC0030, 0x0001003E
.long 0xD1000024, 0x00C248F2
.long 0xD1000025, 0x00C24AF2
.long 0xD3B1403C, 0x18027924
.long 0xD0CC0030, 0x0001003E
.long 0xD1000026, 0x00C24CF2
.long 0xD1000027, 0x00C24EF2
.long 0xD3B1403E, 0x18027D26
.long 0xD3B24004, 0x18027118
.long 0xD3B24006, 0x1802751A
.long 0xD3B24008, 0x1802791C
.long 0xD3B2400A, 0x18027D1E
.long 0xBEC41E3A
.long 0x7E700304
.long 0x7E720305
.long 0x7E740306
.long 0x7E760307
.long 0x7E780308
.long 0x7E7A0309
.long 0x7E7C030A
.long 0x7E7E030B
.long 0x8E468220
	;; [unrolled: 34-line block ×3, first 2 shown]
.long 0x800C460C
.long 0x820D800D
.long 0xE07C1000, 0x8003400D
.long 0xE07C1010, 0x8003440D
.long 0xBF800000
.long 0x924602FF, 0x00000100
.long 0xD135000F, 0x00008D00
	;; [unrolled: 3-line block ×3, first 2 shown]
.long 0xE05C1000, 0x800F2010
.long 0xE05C1010, 0x800F2410
.long 0xD3D84028, 0x180001E0
.long 0xD3D84029, 0x180001E4
.long 0xD3D8402A, 0x180001E8
.long 0xD3D8402B, 0x180001EC
.long 0xD3D8402C, 0x180001F0
.long 0xD3D8402D, 0x180001F4
.long 0xD3D8402E, 0x180001F8
.long 0xD3D8402F, 0x180001FC
.long 0xD3D84030, 0x180001E1
.long 0xD3D84031, 0x180001E5
.long 0xD3D84032, 0x180001E9
.long 0xD3D84033, 0x180001ED
.long 0xD3D84034, 0x180001F1
.long 0xD3D84035, 0x180001F5
.long 0xD3D84036, 0x180001F9
.long 0xD3D84037, 0x180001FD
.long 0xD3D84038, 0x180001E2
.long 0xD3D84039, 0x180001E6
.long 0xD3D8403A, 0x180001EA
.long 0xD3D8403B, 0x180001EE
.long 0xD3D8403C, 0x180001F2
.long 0xD3D8403D, 0x180001F6
.long 0xD3D8403E, 0x180001FA
.long 0xD3D8403F, 0x180001FE
.long 0xD3D84040, 0x180001E3
.long 0xD3D84041, 0x180001E7
.long 0xD3D84042, 0x180001EB
.long 0xD3D84043, 0x180001EF
.long 0xD3D84044, 0x180001F3
.long 0xD3D84045, 0x180001F7
.long 0xD3D84046, 0x180001FB
.long 0xD3D84047, 0x180001FF
.long 0xBF800001
.long 0x0A505028
	;; [unrolled: 1-line block ×34, first 2 shown]
.long 0xD0CC0030, 0x0001003E
.long 0xD1000020, 0x00C240F2
	;; [unrolled: 1-line block ×20, first 2 shown]
.long 0xBEC41E3A
.long 0x7E500304
	;; [unrolled: 1-line block ×9, first 2 shown]
.long 0x9246FF20, 0x00000074
.long 0x800C460C
.long 0x820D800D
.long 0xE07C1000, 0x8003280D
.long 0xE07C1010, 0x80032C0D
.long 0xD0CC0030, 0x0001003E
.long 0xD1000020, 0x00C240F2
.long 0xD1000021, 0x00C242F2
.long 0xD3B14030, 0x18026120
.long 0xD0CC0030, 0x0001003E
.long 0xD1000022, 0x00C244F2
.long 0xD1000023, 0x00C246F2
.long 0xD3B14032, 0x18026522
.long 0xD0CC0030, 0x0001003E
.long 0xD1000024, 0x00C248F2
.long 0xD1000025, 0x00C24AF2
.long 0xD3B14034, 0x18026924
.long 0xD0CC0030, 0x0001003E
.long 0xD1000026, 0x00C24CF2
.long 0xD1000027, 0x00C24EF2
.long 0xD3B14036, 0x18026D26
.long 0xD3B24004, 0x18026118
.long 0xD3B24006, 0x1802651A
.long 0xD3B24008, 0x1802691C
.long 0xD3B2400A, 0x18026D1E
.long 0xBEC41E3A
.long 0x7E600304
.long 0x7E620305
.long 0x7E640306
.long 0x7E660307
.long 0x7E680308
.long 0x7E6A0309
.long 0x7E6C030A
.long 0x7E6E030B
.long 0x8E468220
.long 0x800C460C
.long 0x820D800D
.long 0xE07C1000, 0x8003300D
.long 0xE07C1010, 0x8003340D
.long 0xD0CC0030, 0x0001003E
.long 0xD1000020, 0x00C240F2
.long 0xD1000021, 0x00C242F2
.long 0xD3B14038, 0x18027120
.long 0xD0CC0030, 0x0001003E
.long 0xD1000022, 0x00C244F2
.long 0xD1000023, 0x00C246F2
.long 0xD3B1403A, 0x18027522
.long 0xD0CC0030, 0x0001003E
.long 0xD1000024, 0x00C248F2
.long 0xD1000025, 0x00C24AF2
.long 0xD3B1403C, 0x18027924
.long 0xD0CC0030, 0x0001003E
.long 0xD1000026, 0x00C24CF2
.long 0xD1000027, 0x00C24EF2
.long 0xD3B1403E, 0x18027D26
.long 0xD3B24004, 0x18027118
.long 0xD3B24006, 0x1802751A
.long 0xD3B24008, 0x1802791C
.long 0xD3B2400A, 0x18027D1E
.long 0xBEC41E3A
.long 0x7E700304
.long 0x7E720305
.long 0x7E740306
.long 0x7E760307
.long 0x7E780308
.long 0x7E7A0309
.long 0x7E7C030A
.long 0x7E7E030B
.long 0x8E468220
	;; [unrolled: 34-line block ×3, first 2 shown]
.long 0x800C460C
.long 0x820D800D
.long 0xE07C1000, 0x8003400D
.long 0xE07C1010, 0x8003440D
.long 0xBF800000
.long 0x924602FF, 0x00000100
.long 0xD135000F, 0x00008D00
	;; [unrolled: 3-line block ×3, first 2 shown]
.long 0xE05C1000, 0x800F2010
.long 0xE05C1010, 0x800F2410
.long 0x7E50038C
.long 0x7E520390
	;; [unrolled: 1-line block ×66, first 2 shown]
.long 0xD0CC0030, 0x0001003E
.long 0xD1000020, 0x00C240F2
	;; [unrolled: 1-line block ×20, first 2 shown]
.long 0xBEC41E3A
.long 0x7E500304
.long 0x7E520305
.long 0x7E540306
.long 0x7E560307
.long 0x7E580308
.long 0x7E5A0309
.long 0x7E5C030A
.long 0x7E5E030B
.long 0x9246FF20, 0x00000074
.long 0x800C460C
.long 0x820D800D
.long 0xE07C1000, 0x8003280D
.long 0xE07C1010, 0x80032C0D
.long 0xD0CC0030, 0x0001003E
.long 0xD1000020, 0x00C240F2
.long 0xD1000021, 0x00C242F2
.long 0xD3B14030, 0x18026120
.long 0xD0CC0030, 0x0001003E
.long 0xD1000022, 0x00C244F2
.long 0xD1000023, 0x00C246F2
.long 0xD3B14032, 0x18026522
.long 0xD0CC0030, 0x0001003E
.long 0xD1000024, 0x00C248F2
.long 0xD1000025, 0x00C24AF2
.long 0xD3B14034, 0x18026924
.long 0xD0CC0030, 0x0001003E
.long 0xD1000026, 0x00C24CF2
.long 0xD1000027, 0x00C24EF2
.long 0xD3B14036, 0x18026D26
.long 0xD3B24004, 0x18026118
.long 0xD3B24006, 0x1802651A
.long 0xD3B24008, 0x1802691C
.long 0xD3B2400A, 0x18026D1E
.long 0xBEC41E3A
.long 0x7E600304
.long 0x7E620305
.long 0x7E640306
.long 0x7E660307
.long 0x7E680308
.long 0x7E6A0309
.long 0x7E6C030A
.long 0x7E6E030B
.long 0x8E468220
.long 0x800C460C
.long 0x820D800D
.long 0xE07C1000, 0x8003300D
.long 0xE07C1010, 0x8003340D
.long 0xD0CC0030, 0x0001003E
.long 0xD1000020, 0x00C240F2
.long 0xD1000021, 0x00C242F2
.long 0xD3B14038, 0x18027120
.long 0xD0CC0030, 0x0001003E
.long 0xD1000022, 0x00C244F2
.long 0xD1000023, 0x00C246F2
.long 0xD3B1403A, 0x18027522
.long 0xD0CC0030, 0x0001003E
.long 0xD1000024, 0x00C248F2
.long 0xD1000025, 0x00C24AF2
.long 0xD3B1403C, 0x18027924
.long 0xD0CC0030, 0x0001003E
.long 0xD1000026, 0x00C24CF2
.long 0xD1000027, 0x00C24EF2
.long 0xD3B1403E, 0x18027D26
.long 0xD3B24004, 0x18027118
.long 0xD3B24006, 0x1802751A
.long 0xD3B24008, 0x1802791C
.long 0xD3B2400A, 0x18027D1E
.long 0xBEC41E3A
.long 0x7E700304
.long 0x7E720305
.long 0x7E740306
.long 0x7E760307
.long 0x7E780308
.long 0x7E7A0309
.long 0x7E7C030A
.long 0x7E7E030B
.long 0x8E468220
	;; [unrolled: 34-line block ×3, first 2 shown]
.long 0x800C460C
.long 0x820D800D
.long 0xE07C1000, 0x8003400D
.long 0xE07C1010, 0x8003440D
.long 0xBF800000
.long 0x924602FF, 0x00000100
.long 0xD135000F, 0x00008D00
	;; [unrolled: 3-line block ×3, first 2 shown]
.long 0xE05C1000, 0x800F2010
.long 0xE05C1010, 0x800F2410
.long 0x7E5003AC
.long 0x7E5203B0
	;; [unrolled: 1-line block ×66, first 2 shown]
.long 0xD0CC0030, 0x0001003E
.long 0xD1000020, 0x00C240F2
	;; [unrolled: 1-line block ×20, first 2 shown]
.long 0xBEC41E3A
.long 0x7E500304
	;; [unrolled: 1-line block ×9, first 2 shown]
.long 0x9246FF20, 0x00000074
.long 0x800C460C
.long 0x820D800D
.long 0xE07C1000, 0x8003280D
.long 0xE07C1010, 0x80032C0D
.long 0xD0CC0030, 0x0001003E
.long 0xD1000020, 0x00C240F2
.long 0xD1000021, 0x00C242F2
.long 0xD3B14030, 0x18026120
.long 0xD0CC0030, 0x0001003E
.long 0xD1000022, 0x00C244F2
.long 0xD1000023, 0x00C246F2
.long 0xD3B14032, 0x18026522
.long 0xD0CC0030, 0x0001003E
.long 0xD1000024, 0x00C248F2
.long 0xD1000025, 0x00C24AF2
.long 0xD3B14034, 0x18026924
.long 0xD0CC0030, 0x0001003E
.long 0xD1000026, 0x00C24CF2
.long 0xD1000027, 0x00C24EF2
.long 0xD3B14036, 0x18026D26
.long 0xD3B24004, 0x18026118
.long 0xD3B24006, 0x1802651A
.long 0xD3B24008, 0x1802691C
.long 0xD3B2400A, 0x18026D1E
.long 0xBEC41E3A
.long 0x7E600304
.long 0x7E620305
.long 0x7E640306
.long 0x7E660307
.long 0x7E680308
.long 0x7E6A0309
.long 0x7E6C030A
.long 0x7E6E030B
.long 0x8E468220
.long 0x800C460C
.long 0x820D800D
.long 0xE07C1000, 0x8003300D
.long 0xE07C1010, 0x8003340D
.long 0xD0CC0030, 0x0001003E
.long 0xD1000020, 0x00C240F2
.long 0xD1000021, 0x00C242F2
.long 0xD3B14038, 0x18027120
.long 0xD0CC0030, 0x0001003E
.long 0xD1000022, 0x00C244F2
.long 0xD1000023, 0x00C246F2
.long 0xD3B1403A, 0x18027522
.long 0xD0CC0030, 0x0001003E
.long 0xD1000024, 0x00C248F2
.long 0xD1000025, 0x00C24AF2
.long 0xD3B1403C, 0x18027924
.long 0xD0CC0030, 0x0001003E
.long 0xD1000026, 0x00C24CF2
.long 0xD1000027, 0x00C24EF2
.long 0xD3B1403E, 0x18027D26
.long 0xD3B24004, 0x18027118
.long 0xD3B24006, 0x1802751A
.long 0xD3B24008, 0x1802791C
.long 0xD3B2400A, 0x18027D1E
.long 0xBEC41E3A
.long 0x7E700304
.long 0x7E720305
.long 0x7E740306
.long 0x7E760307
.long 0x7E780308
.long 0x7E7A0309
.long 0x7E7C030A
.long 0x7E7E030B
.long 0x8E468220
.long 0x800C460C
.long 0x820D800D
.long 0xE07C1000, 0x8003380D
.long 0xE07C1010, 0x80033C0D
.long 0xD0CC0030, 0x0001003E
.long 0xD1000020, 0x00C240F2
.long 0xD1000021, 0x00C242F2
.long 0xD3B14040, 0x18028120
.long 0xD0CC0030, 0x0001003E
.long 0xD1000022, 0x00C244F2
.long 0xD1000023, 0x00C246F2
.long 0xD3B14042, 0x18028522
.long 0xD0CC0030, 0x0001003E
.long 0xD1000024, 0x00C248F2
.long 0xD1000025, 0x00C24AF2
.long 0xD3B14044, 0x18028924
.long 0xD0CC0030, 0x0001003E
.long 0xD1000026, 0x00C24CF2
.long 0xD1000027, 0x00C24EF2
.long 0xD3B14046, 0x18028D26
.long 0xD3B24004, 0x18028118
.long 0xD3B24006, 0x1802851A
.long 0xD3B24008, 0x1802891C
.long 0xD3B2400A, 0x18028D1E
.long 0xBEC41E3A
.long 0x7E800304
.long 0x7E820305
.long 0x7E840306
.long 0x7E860307
.long 0x7E880308
.long 0x7E8A0309
.long 0x7E8C030A
.long 0x7E8E030B
.long 0x8E468220
.long 0x800C460C
.long 0x820D800D
.long 0xE07C1000, 0x8003400D
.long 0xE07C1010, 0x8003440D
.long 0xBF800000
.long 0x924602FF, 0x00000100
.long 0xD135000F, 0x00008D00
.long 0x241E1E82
.long 0xD9FE0000, 0x1800000F
.long 0xD9FE0010, 0x1C00000F
.long 0xE05C1000, 0x800F2010
.long 0xE05C1010, 0x800F2410
.long 0x7E5003CC
.long 0x7E5203D0
	;; [unrolled: 1-line block ×66, first 2 shown]
.long 0xD0CC0030, 0x0001003E
.long 0xD1000020, 0x00C240F2
	;; [unrolled: 1-line block ×20, first 2 shown]
.long 0xBEC41E3A
.long 0x7E500304
	;; [unrolled: 1-line block ×9, first 2 shown]
.long 0x9246FF20, 0x00000074
.long 0x800C460C
.long 0x820D800D
.long 0xE07C1000, 0x8003280D
.long 0xE07C1010, 0x80032C0D
.long 0xD0CC0030, 0x0001003E
.long 0xD1000020, 0x00C240F2
.long 0xD1000021, 0x00C242F2
.long 0xD3B14030, 0x18026120
.long 0xD0CC0030, 0x0001003E
.long 0xD1000022, 0x00C244F2
.long 0xD1000023, 0x00C246F2
.long 0xD3B14032, 0x18026522
.long 0xD0CC0030, 0x0001003E
.long 0xD1000024, 0x00C248F2
.long 0xD1000025, 0x00C24AF2
.long 0xD3B14034, 0x18026924
.long 0xD0CC0030, 0x0001003E
.long 0xD1000026, 0x00C24CF2
.long 0xD1000027, 0x00C24EF2
.long 0xD3B14036, 0x18026D26
.long 0xD3B24004, 0x18026118
.long 0xD3B24006, 0x1802651A
.long 0xD3B24008, 0x1802691C
.long 0xD3B2400A, 0x18026D1E
.long 0xBEC41E3A
.long 0x7E600304
.long 0x7E620305
.long 0x7E640306
.long 0x7E660307
.long 0x7E680308
.long 0x7E6A0309
.long 0x7E6C030A
.long 0x7E6E030B
.long 0x8E468220
.long 0x800C460C
.long 0x820D800D
.long 0xE07C1000, 0x8003300D
.long 0xE07C1010, 0x8003340D
.long 0xD0CC0030, 0x0001003E
.long 0xD1000020, 0x00C240F2
.long 0xD1000021, 0x00C242F2
.long 0xD3B14038, 0x18027120
.long 0xD0CC0030, 0x0001003E
.long 0xD1000022, 0x00C244F2
.long 0xD1000023, 0x00C246F2
.long 0xD3B1403A, 0x18027522
.long 0xD0CC0030, 0x0001003E
.long 0xD1000024, 0x00C248F2
.long 0xD1000025, 0x00C24AF2
.long 0xD3B1403C, 0x18027924
.long 0xD0CC0030, 0x0001003E
.long 0xD1000026, 0x00C24CF2
.long 0xD1000027, 0x00C24EF2
.long 0xD3B1403E, 0x18027D26
.long 0xD3B24004, 0x18027118
.long 0xD3B24006, 0x1802751A
.long 0xD3B24008, 0x1802791C
.long 0xD3B2400A, 0x18027D1E
.long 0xBEC41E3A
.long 0x7E700304
.long 0x7E720305
.long 0x7E740306
.long 0x7E760307
.long 0x7E780308
.long 0x7E7A0309
.long 0x7E7C030A
.long 0x7E7E030B
.long 0x8E468220
	;; [unrolled: 34-line block ×3, first 2 shown]
.long 0x800C460C
.long 0x820D800D
.long 0xE07C1000, 0x8003400D
.long 0xE07C1010, 0x8003440D
.long 0xBF800000
.long 0xBF823C89
.long 0x7E8202FF, 0x80000000
.long 0xD0C90046, 0x00002900
	;; [unrolled: 1-line block ×3, first 2 shown]
.long 0x86CA4A46
.long 0x924602FF, 0x00000100
.long 0xD135000E, 0x00008D00
.long 0x241C1C82
.long 0xD100000E, 0x012A1D41
.long 0xBF8CC07F
.long 0xBF8A0000
.long 0xD9FE0000, 0x1000000E
.long 0xD9FE0010, 0x1400000E
.long 0x241E0082
.long 0xE05C1000, 0x800F180F
.long 0xE05C1010, 0x800F1C0F
	;; [unrolled: 1-line block ×9, first 2 shown]
.long 0x86CA4A46
.long 0x924602FF, 0x00000100
.long 0xD1350029, 0x00008D00
.long 0x24525282
.long 0xD1000029, 0x012A5341
.long 0x24540082
.long 0xD1FE0028, 0x020A0103
.long 0xD1000028, 0x012A5141
.long 0xD1196A01, 0x00010301
.long 0xD1340002, 0x00004502
.long 0xD1340003, 0x00004103
.long 0xD0C90046, 0x00002900
.long 0xD0C9004A, 0x00002B01
.long 0x86CA4A46
.long 0x924602FF, 0x00000100
.long 0xD135002C, 0x00008D00
.long 0x24585882
.long 0xD100002C, 0x012A5941
.long 0x245A0082
.long 0xD1FE002B, 0x020A0103
.long 0xD100002B, 0x012A5741
.long 0xD1196A01, 0x00010301
.long 0xD1340002, 0x00004502
.long 0xD1340003, 0x00004103
.long 0xD0C90046, 0x00002900
.long 0xD0C9004A, 0x00002B01
	;; [unrolled: 13-line block ×3, first 2 shown]
.long 0xD3D84025, 0x18000114
.long 0xD3D84026, 0x18000118
	;; [unrolled: 1-line block ×27, first 2 shown]
.long 0xBF800001
.long 0x0A404028
	;; [unrolled: 1-line block ×34, first 2 shown]
.long 0xD0CC0030, 0x0001003E
.long 0xD1000018, 0x00C230F2
.long 0xD1000019, 0x00C232F2
.long 0xD3B14020, 0x18024118
.long 0xD0CC0030, 0x0001003E
.long 0xD100001A, 0x00C234F2
.long 0xD100001B, 0x00C236F2
.long 0xD3B14022, 0x1802451A
.long 0xD0CC0030, 0x0001003E
.long 0xD100001C, 0x00C238F2
.long 0xD100001D, 0x00C23AF2
.long 0xD3B14024, 0x1802491C
.long 0xD0CC0030, 0x0001003E
.long 0xD100001E, 0x00C23CF2
.long 0xD100001F, 0x00C23EF2
.long 0xD3B14026, 0x18024D1E
.long 0xD3B24004, 0x18024110
.long 0xD3B24006, 0x18024512
.long 0xD3B24008, 0x18024914
.long 0xD3B2400A, 0x18024D16
.long 0xBEC41E3A
.long 0x7E400304
.long 0x7E420305
.long 0x7E440306
.long 0x7E460307
.long 0x7E480308
.long 0x7E4A0309
.long 0x7E4C030A
.long 0x7E4E030B
.long 0xE07C1000, 0x8003200D
.long 0xE07C1010, 0x8003240D
.long 0xD0CC0030, 0x0001003E
.long 0xD1000018, 0x00C230F2
.long 0xD1000019, 0x00C232F2
.long 0xD3B14030, 0x18026118
.long 0xD0CC0030, 0x0001003E
.long 0xD100001A, 0x00C234F2
.long 0xD100001B, 0x00C236F2
.long 0xD3B14032, 0x1802651A
.long 0xD0CC0030, 0x0001003E
.long 0xD100001C, 0x00C238F2
.long 0xD100001D, 0x00C23AF2
.long 0xD3B14034, 0x1802691C
.long 0xD0CC0030, 0x0001003E
.long 0xD100001E, 0x00C23CF2
.long 0xD100001F, 0x00C23EF2
.long 0xD3B14036, 0x18026D1E
.long 0xD3B24004, 0x18026110
.long 0xD3B24006, 0x18026512
.long 0xD3B24008, 0x18026914
.long 0xD3B2400A, 0x18026D16
.long 0xBEC41E3A
.long 0x7E600304
.long 0x7E620305
.long 0x7E640306
.long 0x7E660307
.long 0x7E680308
.long 0x7E6A0309
.long 0x7E6C030A
.long 0x7E6E030B
.long 0xE07C1000, 0x80033028
.long 0xE07C1010, 0x80033428
	;; [unrolled: 31-line block ×4, first 2 shown]
.long 0xBF800000
.long 0x7E8202FF, 0x80000000
.long 0xD1196A01, 0x00013B01
.long 0x92469D22
.long 0xD1340002, 0x00008D02
.long 0x92469D20
.long 0xD1340003, 0x00008D03
.long 0xD0C90046, 0x00002900
	;; [unrolled: 1-line block ×3, first 2 shown]
.long 0x86CA4A46
.long 0x924602FF, 0x00000100
.long 0xD135000E, 0x00008D00
.long 0x241C1C82
.long 0xD100000E, 0x012A1D41
.long 0xD9FE0000, 0x1000000E
	;; [unrolled: 1-line block ×3, first 2 shown]
.long 0x241E0082
.long 0xE05C1000, 0x800F180F
.long 0xE05C1010, 0x800F1C0F
	;; [unrolled: 1-line block ×9, first 2 shown]
.long 0x86CA4A46
.long 0x924602FF, 0x00000100
.long 0xD1350029, 0x00008D00
.long 0x24525282
.long 0xD1000029, 0x012A5341
.long 0x24540082
.long 0xD1FE0028, 0x020A0103
.long 0xD1000028, 0x012A5141
.long 0xD1196A01, 0x00010301
.long 0xD1340002, 0x00004502
.long 0xD1340003, 0x00004103
.long 0xD0C90046, 0x00002900
.long 0xD0C9004A, 0x00002B01
.long 0x86CA4A46
.long 0x924602FF, 0x00000100
.long 0xD135002C, 0x00008D00
.long 0x24585882
.long 0xD100002C, 0x012A5941
.long 0x245A0082
.long 0xD1FE002B, 0x020A0103
.long 0xD100002B, 0x012A5741
.long 0xD1196A01, 0x00010301
.long 0xD1340002, 0x00004502
.long 0xD1340003, 0x00004103
.long 0xD0C90046, 0x00002900
.long 0xD0C9004A, 0x00002B01
	;; [unrolled: 13-line block ×3, first 2 shown]
.long 0xD3D84025, 0x18000134
.long 0xD3D84026, 0x18000138
	;; [unrolled: 1-line block ×27, first 2 shown]
.long 0xBF800001
.long 0x0A404028
	;; [unrolled: 1-line block ×34, first 2 shown]
.long 0xD0CC0030, 0x0001003E
.long 0xD1000018, 0x00C230F2
.long 0xD1000019, 0x00C232F2
.long 0xD3B14020, 0x18024118
.long 0xD0CC0030, 0x0001003E
.long 0xD100001A, 0x00C234F2
.long 0xD100001B, 0x00C236F2
.long 0xD3B14022, 0x1802451A
.long 0xD0CC0030, 0x0001003E
.long 0xD100001C, 0x00C238F2
.long 0xD100001D, 0x00C23AF2
.long 0xD3B14024, 0x1802491C
.long 0xD0CC0030, 0x0001003E
.long 0xD100001E, 0x00C23CF2
.long 0xD100001F, 0x00C23EF2
.long 0xD3B14026, 0x18024D1E
.long 0xD3B24004, 0x18024110
.long 0xD3B24006, 0x18024512
.long 0xD3B24008, 0x18024914
.long 0xD3B2400A, 0x18024D16
.long 0xBEC41E3A
.long 0x7E400304
.long 0x7E420305
.long 0x7E440306
.long 0x7E460307
.long 0x7E480308
.long 0x7E4A0309
.long 0x7E4C030A
.long 0x7E4E030B
.long 0xE07C1000, 0x8003200D
.long 0xE07C1010, 0x8003240D
.long 0xD0CC0030, 0x0001003E
.long 0xD1000018, 0x00C230F2
.long 0xD1000019, 0x00C232F2
.long 0xD3B14030, 0x18026118
.long 0xD0CC0030, 0x0001003E
.long 0xD100001A, 0x00C234F2
.long 0xD100001B, 0x00C236F2
.long 0xD3B14032, 0x1802651A
.long 0xD0CC0030, 0x0001003E
.long 0xD100001C, 0x00C238F2
.long 0xD100001D, 0x00C23AF2
.long 0xD3B14034, 0x1802691C
.long 0xD0CC0030, 0x0001003E
.long 0xD100001E, 0x00C23CF2
.long 0xD100001F, 0x00C23EF2
.long 0xD3B14036, 0x18026D1E
.long 0xD3B24004, 0x18026110
.long 0xD3B24006, 0x18026512
.long 0xD3B24008, 0x18026914
.long 0xD3B2400A, 0x18026D16
.long 0xBEC41E3A
.long 0x7E600304
.long 0x7E620305
.long 0x7E640306
.long 0x7E660307
.long 0x7E680308
.long 0x7E6A0309
.long 0x7E6C030A
.long 0x7E6E030B
.long 0xE07C1000, 0x80033028
.long 0xE07C1010, 0x80033428
	;; [unrolled: 31-line block ×4, first 2 shown]
.long 0xBF800000
.long 0x7E8202FF, 0x80000000
.long 0xD1196A01, 0x00013B01
.long 0x92469D22
.long 0xD1340002, 0x00008D02
.long 0x92469D20
.long 0xD1340003, 0x00008D03
.long 0xD0C90046, 0x00002900
	;; [unrolled: 1-line block ×3, first 2 shown]
.long 0x86CA4A46
.long 0x924602FF, 0x00000100
.long 0xD135000E, 0x00008D00
.long 0x241C1C82
.long 0xD100000E, 0x012A1D41
.long 0xD9FE0000, 0x1000000E
	;; [unrolled: 1-line block ×3, first 2 shown]
.long 0x241E0082
.long 0xE05C1000, 0x800F180F
.long 0xE05C1010, 0x800F1C0F
	;; [unrolled: 1-line block ×9, first 2 shown]
.long 0x86CA4A46
.long 0x924602FF, 0x00000100
.long 0xD1350029, 0x00008D00
.long 0x24525282
.long 0xD1000029, 0x012A5341
.long 0x24540082
.long 0xD1FE0028, 0x020A0103
.long 0xD1000028, 0x012A5141
.long 0xD1196A01, 0x00010301
.long 0xD1340002, 0x00004502
.long 0xD1340003, 0x00004103
.long 0xD0C90046, 0x00002900
.long 0xD0C9004A, 0x00002B01
.long 0x86CA4A46
.long 0x924602FF, 0x00000100
.long 0xD135002C, 0x00008D00
.long 0x24585882
.long 0xD100002C, 0x012A5941
.long 0x245A0082
.long 0xD1FE002B, 0x020A0103
.long 0xD100002B, 0x012A5741
.long 0xD1196A01, 0x00010301
.long 0xD1340002, 0x00004502
.long 0xD1340003, 0x00004103
.long 0xD0C90046, 0x00002900
.long 0xD0C9004A, 0x00002B01
	;; [unrolled: 13-line block ×3, first 2 shown]
.long 0xD3D84025, 0x18000154
.long 0xD3D84026, 0x18000158
	;; [unrolled: 1-line block ×27, first 2 shown]
.long 0xBF800001
.long 0x0A404028
	;; [unrolled: 1-line block ×34, first 2 shown]
.long 0xD0CC0030, 0x0001003E
.long 0xD1000018, 0x00C230F2
.long 0xD1000019, 0x00C232F2
.long 0xD3B14020, 0x18024118
.long 0xD0CC0030, 0x0001003E
.long 0xD100001A, 0x00C234F2
.long 0xD100001B, 0x00C236F2
.long 0xD3B14022, 0x1802451A
.long 0xD0CC0030, 0x0001003E
.long 0xD100001C, 0x00C238F2
.long 0xD100001D, 0x00C23AF2
.long 0xD3B14024, 0x1802491C
.long 0xD0CC0030, 0x0001003E
.long 0xD100001E, 0x00C23CF2
.long 0xD100001F, 0x00C23EF2
.long 0xD3B14026, 0x18024D1E
.long 0xD3B24004, 0x18024110
.long 0xD3B24006, 0x18024512
.long 0xD3B24008, 0x18024914
.long 0xD3B2400A, 0x18024D16
.long 0xBEC41E3A
.long 0x7E400304
.long 0x7E420305
.long 0x7E440306
.long 0x7E460307
.long 0x7E480308
.long 0x7E4A0309
.long 0x7E4C030A
.long 0x7E4E030B
.long 0xE07C1000, 0x8003200D
.long 0xE07C1010, 0x8003240D
.long 0xD0CC0030, 0x0001003E
.long 0xD1000018, 0x00C230F2
.long 0xD1000019, 0x00C232F2
.long 0xD3B14030, 0x18026118
.long 0xD0CC0030, 0x0001003E
.long 0xD100001A, 0x00C234F2
.long 0xD100001B, 0x00C236F2
.long 0xD3B14032, 0x1802651A
.long 0xD0CC0030, 0x0001003E
.long 0xD100001C, 0x00C238F2
.long 0xD100001D, 0x00C23AF2
.long 0xD3B14034, 0x1802691C
.long 0xD0CC0030, 0x0001003E
.long 0xD100001E, 0x00C23CF2
.long 0xD100001F, 0x00C23EF2
.long 0xD3B14036, 0x18026D1E
.long 0xD3B24004, 0x18026110
.long 0xD3B24006, 0x18026512
.long 0xD3B24008, 0x18026914
.long 0xD3B2400A, 0x18026D16
.long 0xBEC41E3A
.long 0x7E600304
.long 0x7E620305
.long 0x7E640306
.long 0x7E660307
.long 0x7E680308
.long 0x7E6A0309
.long 0x7E6C030A
.long 0x7E6E030B
.long 0xE07C1000, 0x80033028
.long 0xE07C1010, 0x80033428
	;; [unrolled: 31-line block ×4, first 2 shown]
.long 0xBF800000
.long 0x7E8202FF, 0x80000000
.long 0xD1196A01, 0x00013B01
.long 0x92469D22
.long 0xD1340002, 0x00008D02
.long 0x92469D20
.long 0xD1340003, 0x00008D03
.long 0xD0C90046, 0x00002900
	;; [unrolled: 1-line block ×3, first 2 shown]
.long 0x86CA4A46
.long 0x924602FF, 0x00000100
.long 0xD135000E, 0x00008D00
.long 0x241C1C82
.long 0xD100000E, 0x012A1D41
.long 0xD9FE0000, 0x1000000E
	;; [unrolled: 1-line block ×3, first 2 shown]
.long 0x241E0082
.long 0xE05C1000, 0x800F180F
.long 0xE05C1010, 0x800F1C0F
	;; [unrolled: 1-line block ×9, first 2 shown]
.long 0x86CA4A46
.long 0x924602FF, 0x00000100
.long 0xD1350029, 0x00008D00
.long 0x24525282
.long 0xD1000029, 0x012A5341
.long 0x24540082
.long 0xD1FE0028, 0x020A0103
.long 0xD1000028, 0x012A5141
.long 0xD1196A01, 0x00010301
.long 0xD1340002, 0x00004502
.long 0xD1340003, 0x00004103
.long 0xD0C90046, 0x00002900
.long 0xD0C9004A, 0x00002B01
.long 0x86CA4A46
.long 0x924602FF, 0x00000100
.long 0xD135002C, 0x00008D00
.long 0x24585882
.long 0xD100002C, 0x012A5941
.long 0x245A0082
.long 0xD1FE002B, 0x020A0103
.long 0xD100002B, 0x012A5741
.long 0xD1196A01, 0x00010301
.long 0xD1340002, 0x00004502
.long 0xD1340003, 0x00004103
.long 0xD0C90046, 0x00002900
.long 0xD0C9004A, 0x00002B01
	;; [unrolled: 13-line block ×3, first 2 shown]
.long 0xD3D84025, 0x18000174
.long 0xD3D84026, 0x18000178
	;; [unrolled: 1-line block ×27, first 2 shown]
.long 0xBF800001
.long 0x0A404028
	;; [unrolled: 1-line block ×34, first 2 shown]
.long 0xD0CC0030, 0x0001003E
.long 0xD1000018, 0x00C230F2
.long 0xD1000019, 0x00C232F2
.long 0xD3B14020, 0x18024118
.long 0xD0CC0030, 0x0001003E
.long 0xD100001A, 0x00C234F2
.long 0xD100001B, 0x00C236F2
.long 0xD3B14022, 0x1802451A
.long 0xD0CC0030, 0x0001003E
.long 0xD100001C, 0x00C238F2
.long 0xD100001D, 0x00C23AF2
.long 0xD3B14024, 0x1802491C
.long 0xD0CC0030, 0x0001003E
.long 0xD100001E, 0x00C23CF2
.long 0xD100001F, 0x00C23EF2
.long 0xD3B14026, 0x18024D1E
.long 0xD3B24004, 0x18024110
.long 0xD3B24006, 0x18024512
.long 0xD3B24008, 0x18024914
.long 0xD3B2400A, 0x18024D16
.long 0xBEC41E3A
.long 0x7E400304
.long 0x7E420305
.long 0x7E440306
.long 0x7E460307
.long 0x7E480308
.long 0x7E4A0309
.long 0x7E4C030A
.long 0x7E4E030B
.long 0xE07C1000, 0x8003200D
.long 0xE07C1010, 0x8003240D
.long 0xD0CC0030, 0x0001003E
.long 0xD1000018, 0x00C230F2
.long 0xD1000019, 0x00C232F2
.long 0xD3B14030, 0x18026118
.long 0xD0CC0030, 0x0001003E
.long 0xD100001A, 0x00C234F2
.long 0xD100001B, 0x00C236F2
.long 0xD3B14032, 0x1802651A
.long 0xD0CC0030, 0x0001003E
.long 0xD100001C, 0x00C238F2
.long 0xD100001D, 0x00C23AF2
.long 0xD3B14034, 0x1802691C
.long 0xD0CC0030, 0x0001003E
.long 0xD100001E, 0x00C23CF2
.long 0xD100001F, 0x00C23EF2
.long 0xD3B14036, 0x18026D1E
.long 0xD3B24004, 0x18026110
.long 0xD3B24006, 0x18026512
.long 0xD3B24008, 0x18026914
.long 0xD3B2400A, 0x18026D16
.long 0xBEC41E3A
.long 0x7E600304
.long 0x7E620305
.long 0x7E640306
.long 0x7E660307
.long 0x7E680308
.long 0x7E6A0309
.long 0x7E6C030A
.long 0x7E6E030B
.long 0xE07C1000, 0x80033028
.long 0xE07C1010, 0x80033428
	;; [unrolled: 31-line block ×4, first 2 shown]
.long 0xBF800000
.long 0x7E8202FF, 0x80000000
.long 0xD1196A01, 0x00013B01
.long 0x92469D22
.long 0xD1340002, 0x00008D02
.long 0x92469D20
.long 0xD1340003, 0x00008D03
.long 0xD0C90046, 0x00002900
	;; [unrolled: 1-line block ×3, first 2 shown]
.long 0x86CA4A46
.long 0x924602FF, 0x00000100
.long 0xD135000E, 0x00008D00
.long 0x241C1C82
.long 0xD100000E, 0x012A1D41
.long 0xD9FE0000, 0x1000000E
	;; [unrolled: 1-line block ×3, first 2 shown]
.long 0x241E0082
.long 0xE05C1000, 0x800F180F
.long 0xE05C1010, 0x800F1C0F
	;; [unrolled: 1-line block ×9, first 2 shown]
.long 0x86CA4A46
.long 0x924602FF, 0x00000100
.long 0xD1350029, 0x00008D00
.long 0x24525282
.long 0xD1000029, 0x012A5341
.long 0x24540082
.long 0xD1FE0028, 0x020A0103
.long 0xD1000028, 0x012A5141
.long 0xD1196A01, 0x00010301
.long 0xD1340002, 0x00004502
.long 0xD1340003, 0x00004103
.long 0xD0C90046, 0x00002900
.long 0xD0C9004A, 0x00002B01
.long 0x86CA4A46
.long 0x924602FF, 0x00000100
.long 0xD135002C, 0x00008D00
.long 0x24585882
.long 0xD100002C, 0x012A5941
.long 0x245A0082
.long 0xD1FE002B, 0x020A0103
.long 0xD100002B, 0x012A5741
.long 0xD1196A01, 0x00010301
.long 0xD1340002, 0x00004502
.long 0xD1340003, 0x00004103
.long 0xD0C90046, 0x00002900
.long 0xD0C9004A, 0x00002B01
	;; [unrolled: 13-line block ×3, first 2 shown]
.long 0xD3D84025, 0x18000194
.long 0xD3D84026, 0x18000198
	;; [unrolled: 1-line block ×27, first 2 shown]
.long 0xBF800001
.long 0x0A404028
	;; [unrolled: 1-line block ×34, first 2 shown]
.long 0xD0CC0030, 0x0001003E
.long 0xD1000018, 0x00C230F2
.long 0xD1000019, 0x00C232F2
.long 0xD3B14020, 0x18024118
.long 0xD0CC0030, 0x0001003E
.long 0xD100001A, 0x00C234F2
.long 0xD100001B, 0x00C236F2
.long 0xD3B14022, 0x1802451A
.long 0xD0CC0030, 0x0001003E
.long 0xD100001C, 0x00C238F2
.long 0xD100001D, 0x00C23AF2
.long 0xD3B14024, 0x1802491C
.long 0xD0CC0030, 0x0001003E
.long 0xD100001E, 0x00C23CF2
.long 0xD100001F, 0x00C23EF2
.long 0xD3B14026, 0x18024D1E
.long 0xD3B24004, 0x18024110
.long 0xD3B24006, 0x18024512
.long 0xD3B24008, 0x18024914
.long 0xD3B2400A, 0x18024D16
.long 0xBEC41E3A
.long 0x7E400304
.long 0x7E420305
.long 0x7E440306
.long 0x7E460307
.long 0x7E480308
.long 0x7E4A0309
.long 0x7E4C030A
.long 0x7E4E030B
.long 0xE07C1000, 0x8003200D
.long 0xE07C1010, 0x8003240D
.long 0xD0CC0030, 0x0001003E
.long 0xD1000018, 0x00C230F2
.long 0xD1000019, 0x00C232F2
.long 0xD3B14030, 0x18026118
.long 0xD0CC0030, 0x0001003E
.long 0xD100001A, 0x00C234F2
.long 0xD100001B, 0x00C236F2
.long 0xD3B14032, 0x1802651A
.long 0xD0CC0030, 0x0001003E
.long 0xD100001C, 0x00C238F2
.long 0xD100001D, 0x00C23AF2
.long 0xD3B14034, 0x1802691C
.long 0xD0CC0030, 0x0001003E
.long 0xD100001E, 0x00C23CF2
.long 0xD100001F, 0x00C23EF2
.long 0xD3B14036, 0x18026D1E
.long 0xD3B24004, 0x18026110
.long 0xD3B24006, 0x18026512
.long 0xD3B24008, 0x18026914
.long 0xD3B2400A, 0x18026D16
.long 0xBEC41E3A
.long 0x7E600304
.long 0x7E620305
.long 0x7E640306
.long 0x7E660307
.long 0x7E680308
.long 0x7E6A0309
.long 0x7E6C030A
.long 0x7E6E030B
.long 0xE07C1000, 0x80033028
.long 0xE07C1010, 0x80033428
	;; [unrolled: 31-line block ×4, first 2 shown]
.long 0xBF800000
.long 0x7E8202FF, 0x80000000
.long 0xD1196A01, 0x00013B01
.long 0x92469D22
.long 0xD1340002, 0x00008D02
.long 0x92469D20
.long 0xD1340003, 0x00008D03
.long 0xD0C90046, 0x00002900
	;; [unrolled: 1-line block ×3, first 2 shown]
.long 0x86CA4A46
.long 0x924602FF, 0x00000100
.long 0xD135000E, 0x00008D00
.long 0x241C1C82
.long 0xD100000E, 0x012A1D41
.long 0xD9FE0000, 0x1000000E
	;; [unrolled: 1-line block ×3, first 2 shown]
.long 0x241E0082
.long 0xE05C1000, 0x800F180F
.long 0xE05C1010, 0x800F1C0F
	;; [unrolled: 1-line block ×9, first 2 shown]
.long 0x86CA4A46
.long 0x924602FF, 0x00000100
.long 0xD1350029, 0x00008D00
.long 0x24525282
.long 0xD1000029, 0x012A5341
.long 0x24540082
.long 0xD1FE0028, 0x020A0103
.long 0xD1000028, 0x012A5141
.long 0xD1196A01, 0x00010301
.long 0xD1340002, 0x00004502
.long 0xD1340003, 0x00004103
.long 0xD0C90046, 0x00002900
.long 0xD0C9004A, 0x00002B01
.long 0x86CA4A46
.long 0x924602FF, 0x00000100
.long 0xD135002C, 0x00008D00
.long 0x24585882
.long 0xD100002C, 0x012A5941
.long 0x245A0082
.long 0xD1FE002B, 0x020A0103
.long 0xD100002B, 0x012A5741
.long 0xD1196A01, 0x00010301
.long 0xD1340002, 0x00004502
.long 0xD1340003, 0x00004103
.long 0xD0C90046, 0x00002900
.long 0xD0C9004A, 0x00002B01
.long 0x86CA4A46
.long 0x924602FF, 0x00000100
.long 0xD135002F, 0x00008D00
.long 0x245E5E82
.long 0xD100002F, 0x012A5F41
.long 0x24800082
.long 0xD1FE002E, 0x020A0103
.long 0xD100002E, 0x012A5D41
.long 0xD3D84020, 0x180001A0
.long 0xD3D84021, 0x180001A4
.long 0xD3D84022, 0x180001A8
.long 0xD3D84023, 0x180001AC
.long 0xD3D84024, 0x180001B0
.long 0xD3D84025, 0x180001B4
.long 0xD3D84026, 0x180001B8
	;; [unrolled: 1-line block ×27, first 2 shown]
.long 0xBF800001
.long 0x0A404028
	;; [unrolled: 1-line block ×34, first 2 shown]
.long 0xD0CC0030, 0x0001003E
.long 0xD1000018, 0x00C230F2
.long 0xD1000019, 0x00C232F2
.long 0xD3B14020, 0x18024118
.long 0xD0CC0030, 0x0001003E
.long 0xD100001A, 0x00C234F2
.long 0xD100001B, 0x00C236F2
.long 0xD3B14022, 0x1802451A
.long 0xD0CC0030, 0x0001003E
.long 0xD100001C, 0x00C238F2
.long 0xD100001D, 0x00C23AF2
.long 0xD3B14024, 0x1802491C
.long 0xD0CC0030, 0x0001003E
.long 0xD100001E, 0x00C23CF2
.long 0xD100001F, 0x00C23EF2
.long 0xD3B14026, 0x18024D1E
.long 0xD3B24004, 0x18024110
.long 0xD3B24006, 0x18024512
.long 0xD3B24008, 0x18024914
.long 0xD3B2400A, 0x18024D16
.long 0xBEC41E3A
.long 0x7E400304
.long 0x7E420305
.long 0x7E440306
.long 0x7E460307
.long 0x7E480308
.long 0x7E4A0309
.long 0x7E4C030A
.long 0x7E4E030B
.long 0xE07C1000, 0x8003200D
.long 0xE07C1010, 0x8003240D
.long 0xD0CC0030, 0x0001003E
.long 0xD1000018, 0x00C230F2
.long 0xD1000019, 0x00C232F2
.long 0xD3B14030, 0x18026118
.long 0xD0CC0030, 0x0001003E
.long 0xD100001A, 0x00C234F2
.long 0xD100001B, 0x00C236F2
.long 0xD3B14032, 0x1802651A
.long 0xD0CC0030, 0x0001003E
.long 0xD100001C, 0x00C238F2
.long 0xD100001D, 0x00C23AF2
.long 0xD3B14034, 0x1802691C
.long 0xD0CC0030, 0x0001003E
.long 0xD100001E, 0x00C23CF2
.long 0xD100001F, 0x00C23EF2
.long 0xD3B14036, 0x18026D1E
.long 0xD3B24004, 0x18026110
.long 0xD3B24006, 0x18026512
.long 0xD3B24008, 0x18026914
.long 0xD3B2400A, 0x18026D16
.long 0xBEC41E3A
.long 0x7E600304
.long 0x7E620305
.long 0x7E640306
.long 0x7E660307
.long 0x7E680308
.long 0x7E6A0309
.long 0x7E6C030A
.long 0x7E6E030B
.long 0xE07C1000, 0x80033028
.long 0xE07C1010, 0x80033428
	;; [unrolled: 31-line block ×4, first 2 shown]
.long 0xBF800000
.long 0x7E8202FF, 0x80000000
.long 0xD1196A01, 0x00013B01
.long 0x92469D22
.long 0xD1340002, 0x00008D02
.long 0x92469D20
.long 0xD1340003, 0x00008D03
.long 0xD0C90046, 0x00002900
.long 0xD0C9004A, 0x00002B01
.long 0x86CA4A46
.long 0x924602FF, 0x00000100
.long 0xD135000E, 0x00008D00
.long 0x241C1C82
.long 0xD100000E, 0x012A1D41
.long 0xD9FE0000, 0x1000000E
	;; [unrolled: 1-line block ×3, first 2 shown]
.long 0x241E0082
.long 0xE05C1000, 0x800F180F
.long 0xE05C1010, 0x800F1C0F
	;; [unrolled: 1-line block ×9, first 2 shown]
.long 0x86CA4A46
.long 0x924602FF, 0x00000100
.long 0xD1350029, 0x00008D00
.long 0x24525282
.long 0xD1000029, 0x012A5341
.long 0x24540082
.long 0xD1FE0028, 0x020A0103
.long 0xD1000028, 0x012A5141
.long 0xD1196A01, 0x00010301
.long 0xD1340002, 0x00004502
.long 0xD1340003, 0x00004103
.long 0xD0C90046, 0x00002900
.long 0xD0C9004A, 0x00002B01
.long 0x86CA4A46
.long 0x924602FF, 0x00000100
.long 0xD135002C, 0x00008D00
.long 0x24585882
.long 0xD100002C, 0x012A5941
.long 0x245A0082
.long 0xD1FE002B, 0x020A0103
.long 0xD100002B, 0x012A5741
.long 0xD1196A01, 0x00010301
.long 0xD1340002, 0x00004502
.long 0xD1340003, 0x00004103
.long 0xD0C90046, 0x00002900
.long 0xD0C9004A, 0x00002B01
	;; [unrolled: 13-line block ×3, first 2 shown]
.long 0xD3D84025, 0x180001D4
.long 0xD3D84026, 0x180001D8
	;; [unrolled: 1-line block ×27, first 2 shown]
.long 0xBF800001
.long 0x0A404028
	;; [unrolled: 1-line block ×34, first 2 shown]
.long 0xD0CC0030, 0x0001003E
.long 0xD1000018, 0x00C230F2
.long 0xD1000019, 0x00C232F2
.long 0xD3B14020, 0x18024118
.long 0xD0CC0030, 0x0001003E
.long 0xD100001A, 0x00C234F2
.long 0xD100001B, 0x00C236F2
.long 0xD3B14022, 0x1802451A
.long 0xD0CC0030, 0x0001003E
.long 0xD100001C, 0x00C238F2
.long 0xD100001D, 0x00C23AF2
.long 0xD3B14024, 0x1802491C
.long 0xD0CC0030, 0x0001003E
.long 0xD100001E, 0x00C23CF2
.long 0xD100001F, 0x00C23EF2
.long 0xD3B14026, 0x18024D1E
.long 0xD3B24004, 0x18024110
.long 0xD3B24006, 0x18024512
.long 0xD3B24008, 0x18024914
.long 0xD3B2400A, 0x18024D16
.long 0xBEC41E3A
.long 0x7E400304
.long 0x7E420305
.long 0x7E440306
.long 0x7E460307
.long 0x7E480308
.long 0x7E4A0309
.long 0x7E4C030A
.long 0x7E4E030B
.long 0xE07C1000, 0x8003200D
.long 0xE07C1010, 0x8003240D
.long 0xD0CC0030, 0x0001003E
.long 0xD1000018, 0x00C230F2
.long 0xD1000019, 0x00C232F2
.long 0xD3B14030, 0x18026118
.long 0xD0CC0030, 0x0001003E
.long 0xD100001A, 0x00C234F2
.long 0xD100001B, 0x00C236F2
.long 0xD3B14032, 0x1802651A
.long 0xD0CC0030, 0x0001003E
.long 0xD100001C, 0x00C238F2
.long 0xD100001D, 0x00C23AF2
.long 0xD3B14034, 0x1802691C
.long 0xD0CC0030, 0x0001003E
.long 0xD100001E, 0x00C23CF2
.long 0xD100001F, 0x00C23EF2
.long 0xD3B14036, 0x18026D1E
.long 0xD3B24004, 0x18026110
.long 0xD3B24006, 0x18026512
.long 0xD3B24008, 0x18026914
.long 0xD3B2400A, 0x18026D16
.long 0xBEC41E3A
.long 0x7E600304
.long 0x7E620305
.long 0x7E640306
.long 0x7E660307
.long 0x7E680308
.long 0x7E6A0309
.long 0x7E6C030A
.long 0x7E6E030B
.long 0xE07C1000, 0x80033028
.long 0xE07C1010, 0x80033428
	;; [unrolled: 31-line block ×4, first 2 shown]
.long 0xBF800000
.long 0x7E8202FF, 0x80000000
.long 0xD1196A01, 0x00013B01
.long 0x92469D22
.long 0xD1340002, 0x00008D02
.long 0x92469D20
.long 0xD1340003, 0x00008D03
.long 0xD0C90046, 0x00002900
	;; [unrolled: 1-line block ×3, first 2 shown]
.long 0x86CA4A46
.long 0x924602FF, 0x00000100
.long 0xD135000E, 0x00008D00
.long 0x241C1C82
.long 0xD100000E, 0x012A1D41
.long 0xD9FE0000, 0x1000000E
	;; [unrolled: 1-line block ×3, first 2 shown]
.long 0x241E0082
.long 0xE05C1000, 0x800F180F
.long 0xE05C1010, 0x800F1C0F
	;; [unrolled: 1-line block ×9, first 2 shown]
.long 0x86CA4A46
.long 0x924602FF, 0x00000100
.long 0xD1350029, 0x00008D00
.long 0x24525282
.long 0xD1000029, 0x012A5341
.long 0x24540082
.long 0xD1FE0028, 0x020A0103
.long 0xD1000028, 0x012A5141
.long 0xD1196A01, 0x00010301
.long 0xD1340002, 0x00004502
.long 0xD1340003, 0x00004103
.long 0xD0C90046, 0x00002900
.long 0xD0C9004A, 0x00002B01
.long 0x86CA4A46
.long 0x924602FF, 0x00000100
.long 0xD135002C, 0x00008D00
.long 0x24585882
.long 0xD100002C, 0x012A5941
.long 0x245A0082
.long 0xD1FE002B, 0x020A0103
.long 0xD100002B, 0x012A5741
.long 0xD1196A01, 0x00010301
.long 0xD1340002, 0x00004502
.long 0xD1340003, 0x00004103
.long 0xD0C90046, 0x00002900
.long 0xD0C9004A, 0x00002B01
	;; [unrolled: 13-line block ×3, first 2 shown]
.long 0xD3D84025, 0x180001F4
.long 0xD3D84026, 0x180001F8
	;; [unrolled: 1-line block ×27, first 2 shown]
.long 0xBF800001
.long 0x0A404028
	;; [unrolled: 1-line block ×34, first 2 shown]
.long 0xD0CC0030, 0x0001003E
.long 0xD1000018, 0x00C230F2
.long 0xD1000019, 0x00C232F2
.long 0xD3B14020, 0x18024118
.long 0xD0CC0030, 0x0001003E
.long 0xD100001A, 0x00C234F2
.long 0xD100001B, 0x00C236F2
.long 0xD3B14022, 0x1802451A
.long 0xD0CC0030, 0x0001003E
.long 0xD100001C, 0x00C238F2
.long 0xD100001D, 0x00C23AF2
.long 0xD3B14024, 0x1802491C
.long 0xD0CC0030, 0x0001003E
.long 0xD100001E, 0x00C23CF2
.long 0xD100001F, 0x00C23EF2
.long 0xD3B14026, 0x18024D1E
.long 0xD3B24004, 0x18024110
.long 0xD3B24006, 0x18024512
.long 0xD3B24008, 0x18024914
.long 0xD3B2400A, 0x18024D16
.long 0xBEC41E3A
.long 0x7E400304
.long 0x7E420305
.long 0x7E440306
.long 0x7E460307
.long 0x7E480308
.long 0x7E4A0309
.long 0x7E4C030A
.long 0x7E4E030B
.long 0xE07C1000, 0x8003200D
.long 0xE07C1010, 0x8003240D
.long 0xD0CC0030, 0x0001003E
.long 0xD1000018, 0x00C230F2
.long 0xD1000019, 0x00C232F2
.long 0xD3B14030, 0x18026118
.long 0xD0CC0030, 0x0001003E
.long 0xD100001A, 0x00C234F2
.long 0xD100001B, 0x00C236F2
.long 0xD3B14032, 0x1802651A
.long 0xD0CC0030, 0x0001003E
.long 0xD100001C, 0x00C238F2
.long 0xD100001D, 0x00C23AF2
.long 0xD3B14034, 0x1802691C
.long 0xD0CC0030, 0x0001003E
.long 0xD100001E, 0x00C23CF2
.long 0xD100001F, 0x00C23EF2
.long 0xD3B14036, 0x18026D1E
.long 0xD3B24004, 0x18026110
.long 0xD3B24006, 0x18026512
.long 0xD3B24008, 0x18026914
.long 0xD3B2400A, 0x18026D16
.long 0xBEC41E3A
.long 0x7E600304
.long 0x7E620305
.long 0x7E640306
.long 0x7E660307
.long 0x7E680308
.long 0x7E6A0309
.long 0x7E6C030A
.long 0x7E6E030B
.long 0xE07C1000, 0x80033028
.long 0xE07C1010, 0x80033428
	;; [unrolled: 31-line block ×4, first 2 shown]
.long 0xBF800000
.long 0x7E8202FF, 0x80000000
.long 0xD1196A01, 0x00013B01
.long 0x92469D22
.long 0xD1340002, 0x00008D02
.long 0x92469D20
.long 0xD1340003, 0x00008D03
.long 0xD0C90046, 0x00002900
	;; [unrolled: 1-line block ×3, first 2 shown]
.long 0x86CA4A46
.long 0x924602FF, 0x00000100
.long 0xD135000E, 0x00008D00
.long 0x241C1C82
.long 0xD100000E, 0x012A1D41
.long 0xD9FE0000, 0x1000000E
	;; [unrolled: 1-line block ×3, first 2 shown]
.long 0x241E0082
.long 0xE05C1000, 0x800F180F
.long 0xE05C1010, 0x800F1C0F
	;; [unrolled: 1-line block ×9, first 2 shown]
.long 0x86CA4A46
.long 0x924602FF, 0x00000100
.long 0xD1350029, 0x00008D00
.long 0x24525282
.long 0xD1000029, 0x012A5341
.long 0x24540082
.long 0xD1FE0028, 0x020A0103
.long 0xD1000028, 0x012A5141
	;; [unrolled: 1-line block ×7, first 2 shown]
.long 0x86CA4A46
.long 0x924602FF, 0x00000100
.long 0xD135002C, 0x00008D00
.long 0x24585882
.long 0xD100002C, 0x012A5941
.long 0x245A0082
.long 0xD1FE002B, 0x020A0103
.long 0xD100002B, 0x012A5741
	;; [unrolled: 1-line block ×7, first 2 shown]
.long 0x86CA4A46
.long 0x924602FF, 0x00000100
.long 0xD135002F, 0x00008D00
.long 0x245E5E82
.long 0xD100002F, 0x012A5F41
.long 0x24800082
.long 0xD1FE002E, 0x020A0103
.long 0xD100002E, 0x012A5D41
.long 0x7E40038C
.long 0x7E420390
	;; [unrolled: 1-line block ×66, first 2 shown]
.long 0xD0CC0030, 0x0001003E
.long 0xD1000018, 0x00C230F2
.long 0xD1000019, 0x00C232F2
.long 0xD3B14020, 0x18024118
.long 0xD0CC0030, 0x0001003E
.long 0xD100001A, 0x00C234F2
.long 0xD100001B, 0x00C236F2
.long 0xD3B14022, 0x1802451A
.long 0xD0CC0030, 0x0001003E
.long 0xD100001C, 0x00C238F2
.long 0xD100001D, 0x00C23AF2
.long 0xD3B14024, 0x1802491C
.long 0xD0CC0030, 0x0001003E
.long 0xD100001E, 0x00C23CF2
.long 0xD100001F, 0x00C23EF2
.long 0xD3B14026, 0x18024D1E
.long 0xD3B24004, 0x18024110
.long 0xD3B24006, 0x18024512
.long 0xD3B24008, 0x18024914
.long 0xD3B2400A, 0x18024D16
.long 0xBEC41E3A
.long 0x7E400304
.long 0x7E420305
.long 0x7E440306
.long 0x7E460307
.long 0x7E480308
.long 0x7E4A0309
.long 0x7E4C030A
.long 0x7E4E030B
.long 0xE07C1000, 0x8003200D
.long 0xE07C1010, 0x8003240D
.long 0xD0CC0030, 0x0001003E
.long 0xD1000018, 0x00C230F2
.long 0xD1000019, 0x00C232F2
.long 0xD3B14030, 0x18026118
.long 0xD0CC0030, 0x0001003E
.long 0xD100001A, 0x00C234F2
.long 0xD100001B, 0x00C236F2
.long 0xD3B14032, 0x1802651A
.long 0xD0CC0030, 0x0001003E
.long 0xD100001C, 0x00C238F2
.long 0xD100001D, 0x00C23AF2
.long 0xD3B14034, 0x1802691C
.long 0xD0CC0030, 0x0001003E
.long 0xD100001E, 0x00C23CF2
.long 0xD100001F, 0x00C23EF2
.long 0xD3B14036, 0x18026D1E
.long 0xD3B24004, 0x18026110
.long 0xD3B24006, 0x18026512
.long 0xD3B24008, 0x18026914
.long 0xD3B2400A, 0x18026D16
.long 0xBEC41E3A
.long 0x7E600304
.long 0x7E620305
.long 0x7E640306
.long 0x7E660307
.long 0x7E680308
.long 0x7E6A0309
.long 0x7E6C030A
.long 0x7E6E030B
.long 0xE07C1000, 0x80033028
.long 0xE07C1010, 0x80033428
	;; [unrolled: 31-line block ×4, first 2 shown]
.long 0xBF800000
.long 0x7E8202FF, 0x80000000
.long 0xD1196A01, 0x00013B01
.long 0x92469D22
.long 0xD1340002, 0x00008D02
.long 0x92469D20
.long 0xD1340003, 0x00008D03
.long 0xD0C90046, 0x00002900
	;; [unrolled: 1-line block ×3, first 2 shown]
.long 0x86CA4A46
.long 0x924602FF, 0x00000100
.long 0xD135000E, 0x00008D00
.long 0x241C1C82
.long 0xD100000E, 0x012A1D41
.long 0xD9FE0000, 0x1000000E
	;; [unrolled: 1-line block ×3, first 2 shown]
.long 0x241E0082
.long 0xE05C1000, 0x800F180F
.long 0xE05C1010, 0x800F1C0F
.long 0xD1FE000D, 0x020A0103
.long 0xD100000D, 0x012A1B41
.long 0xD1196A01, 0x00010301
.long 0xD1340002, 0x00004502
.long 0xD1340003, 0x00004103
.long 0xD0C90046, 0x00002900
.long 0xD0C9004A, 0x00002B01
.long 0x86CA4A46
.long 0x924602FF, 0x00000100
.long 0xD1350029, 0x00008D00
.long 0x24525282
.long 0xD1000029, 0x012A5341
.long 0x24540082
.long 0xD1FE0028, 0x020A0103
.long 0xD1000028, 0x012A5141
	;; [unrolled: 1-line block ×7, first 2 shown]
.long 0x86CA4A46
.long 0x924602FF, 0x00000100
.long 0xD135002C, 0x00008D00
.long 0x24585882
.long 0xD100002C, 0x012A5941
.long 0x245A0082
.long 0xD1FE002B, 0x020A0103
.long 0xD100002B, 0x012A5741
	;; [unrolled: 1-line block ×7, first 2 shown]
.long 0x86CA4A46
.long 0x924602FF, 0x00000100
.long 0xD135002F, 0x00008D00
.long 0x245E5E82
.long 0xD100002F, 0x012A5F41
.long 0x24800082
.long 0xD1FE002E, 0x020A0103
.long 0xD100002E, 0x012A5D41
.long 0x7E4003AC
.long 0x7E4203B0
	;; [unrolled: 1-line block ×66, first 2 shown]
.long 0xD0CC0030, 0x0001003E
.long 0xD1000018, 0x00C230F2
.long 0xD1000019, 0x00C232F2
.long 0xD3B14020, 0x18024118
.long 0xD0CC0030, 0x0001003E
.long 0xD100001A, 0x00C234F2
.long 0xD100001B, 0x00C236F2
.long 0xD3B14022, 0x1802451A
.long 0xD0CC0030, 0x0001003E
.long 0xD100001C, 0x00C238F2
.long 0xD100001D, 0x00C23AF2
.long 0xD3B14024, 0x1802491C
.long 0xD0CC0030, 0x0001003E
.long 0xD100001E, 0x00C23CF2
.long 0xD100001F, 0x00C23EF2
.long 0xD3B14026, 0x18024D1E
.long 0xD3B24004, 0x18024110
.long 0xD3B24006, 0x18024512
.long 0xD3B24008, 0x18024914
.long 0xD3B2400A, 0x18024D16
.long 0xBEC41E3A
.long 0x7E400304
.long 0x7E420305
.long 0x7E440306
.long 0x7E460307
.long 0x7E480308
.long 0x7E4A0309
.long 0x7E4C030A
.long 0x7E4E030B
.long 0xE07C1000, 0x8003200D
.long 0xE07C1010, 0x8003240D
.long 0xD0CC0030, 0x0001003E
.long 0xD1000018, 0x00C230F2
.long 0xD1000019, 0x00C232F2
.long 0xD3B14030, 0x18026118
.long 0xD0CC0030, 0x0001003E
.long 0xD100001A, 0x00C234F2
.long 0xD100001B, 0x00C236F2
.long 0xD3B14032, 0x1802651A
.long 0xD0CC0030, 0x0001003E
.long 0xD100001C, 0x00C238F2
.long 0xD100001D, 0x00C23AF2
.long 0xD3B14034, 0x1802691C
.long 0xD0CC0030, 0x0001003E
.long 0xD100001E, 0x00C23CF2
.long 0xD100001F, 0x00C23EF2
.long 0xD3B14036, 0x18026D1E
.long 0xD3B24004, 0x18026110
.long 0xD3B24006, 0x18026512
.long 0xD3B24008, 0x18026914
.long 0xD3B2400A, 0x18026D16
.long 0xBEC41E3A
.long 0x7E600304
.long 0x7E620305
.long 0x7E640306
.long 0x7E660307
.long 0x7E680308
.long 0x7E6A0309
.long 0x7E6C030A
.long 0x7E6E030B
.long 0xE07C1000, 0x80033028
.long 0xE07C1010, 0x80033428
.long 0xD0CC0030, 0x0001003E
.long 0xD1000018, 0x00C230F2
.long 0xD1000019, 0x00C232F2
.long 0xD3B14038, 0x18027118
.long 0xD0CC0030, 0x0001003E
.long 0xD100001A, 0x00C234F2
.long 0xD100001B, 0x00C236F2
.long 0xD3B1403A, 0x1802751A
.long 0xD0CC0030, 0x0001003E
.long 0xD100001C, 0x00C238F2
.long 0xD100001D, 0x00C23AF2
.long 0xD3B1403C, 0x1802791C
.long 0xD0CC0030, 0x0001003E
.long 0xD100001E, 0x00C23CF2
.long 0xD100001F, 0x00C23EF2
.long 0xD3B1403E, 0x18027D1E
.long 0xD3B24004, 0x18027110
.long 0xD3B24006, 0x18027512
.long 0xD3B24008, 0x18027914
.long 0xD3B2400A, 0x18027D16
.long 0xBEC41E3A
.long 0x7E700304
.long 0x7E720305
.long 0x7E740306
.long 0x7E760307
.long 0x7E780308
.long 0x7E7A0309
.long 0x7E7C030A
.long 0x7E7E030B
.long 0xE07C1000, 0x8003382B
.long 0xE07C1010, 0x80033C2B
.long 0xD0CC0030, 0x0001003E
.long 0xD1000018, 0x00C230F2
.long 0xD1000019, 0x00C232F2
.long 0xD3B14048, 0x18029118
.long 0xD0CC0030, 0x0001003E
.long 0xD100001A, 0x00C234F2
.long 0xD100001B, 0x00C236F2
.long 0xD3B1404A, 0x1802951A
.long 0xD0CC0030, 0x0001003E
.long 0xD100001C, 0x00C238F2
.long 0xD100001D, 0x00C23AF2
.long 0xD3B1404C, 0x1802991C
.long 0xD0CC0030, 0x0001003E
.long 0xD100001E, 0x00C23CF2
.long 0xD100001F, 0x00C23EF2
.long 0xD3B1404E, 0x18029D1E
.long 0xD3B24004, 0x18029110
.long 0xD3B24006, 0x18029512
.long 0xD3B24008, 0x18029914
.long 0xD3B2400A, 0x18029D16
.long 0xBEC41E3A
.long 0x7E900304
.long 0x7E920305
.long 0x7E940306
.long 0x7E960307
.long 0x7E980308
.long 0x7E9A0309
.long 0x7E9C030A
.long 0x7E9E030B
.long 0xE07C1000, 0x8003482E
.long 0xE07C1010, 0x80034C2E
.long 0xBF800000
.long 0x7E8202FF, 0x80000000
.long 0xD1196A01, 0x00013B01
.long 0x92469D22
.long 0xD1340002, 0x00008D02
.long 0x92469D20
.long 0xD1340003, 0x00008D03
.long 0xD0C90046, 0x00002900
	;; [unrolled: 1-line block ×3, first 2 shown]
.long 0x86CA4A46
.long 0x924602FF, 0x00000100
.long 0xD135000E, 0x00008D00
.long 0x241C1C82
.long 0xD100000E, 0x012A1D41
.long 0xD9FE0000, 0x1000000E
	;; [unrolled: 1-line block ×3, first 2 shown]
.long 0x241E0082
.long 0xE05C1000, 0x800F180F
.long 0xE05C1010, 0x800F1C0F
	;; [unrolled: 1-line block ×9, first 2 shown]
.long 0x86CA4A46
.long 0x924602FF, 0x00000100
.long 0xD1350029, 0x00008D00
.long 0x24525282
.long 0xD1000029, 0x012A5341
.long 0x24540082
.long 0xD1FE0028, 0x020A0103
.long 0xD1000028, 0x012A5141
	;; [unrolled: 1-line block ×7, first 2 shown]
.long 0x86CA4A46
.long 0x924602FF, 0x00000100
.long 0xD135002C, 0x00008D00
.long 0x24585882
.long 0xD100002C, 0x012A5941
.long 0x245A0082
.long 0xD1FE002B, 0x020A0103
.long 0xD100002B, 0x012A5741
	;; [unrolled: 1-line block ×7, first 2 shown]
.long 0x86CA4A46
.long 0x924602FF, 0x00000100
.long 0xD135002F, 0x00008D00
.long 0x245E5E82
.long 0xD100002F, 0x012A5F41
.long 0x24800082
.long 0xD1FE002E, 0x020A0103
.long 0xD100002E, 0x012A5D41
.long 0x7E4003CC
.long 0x7E4203D0
	;; [unrolled: 1-line block ×66, first 2 shown]
.long 0xD0CC0030, 0x0001003E
.long 0xD1000018, 0x00C230F2
.long 0xD1000019, 0x00C232F2
.long 0xD3B14020, 0x18024118
.long 0xD0CC0030, 0x0001003E
.long 0xD100001A, 0x00C234F2
.long 0xD100001B, 0x00C236F2
.long 0xD3B14022, 0x1802451A
.long 0xD0CC0030, 0x0001003E
.long 0xD100001C, 0x00C238F2
.long 0xD100001D, 0x00C23AF2
.long 0xD3B14024, 0x1802491C
.long 0xD0CC0030, 0x0001003E
.long 0xD100001E, 0x00C23CF2
.long 0xD100001F, 0x00C23EF2
.long 0xD3B14026, 0x18024D1E
.long 0xD3B24004, 0x18024110
.long 0xD3B24006, 0x18024512
.long 0xD3B24008, 0x18024914
.long 0xD3B2400A, 0x18024D16
.long 0xBEC41E3A
.long 0x7E400304
.long 0x7E420305
.long 0x7E440306
.long 0x7E460307
.long 0x7E480308
.long 0x7E4A0309
.long 0x7E4C030A
.long 0x7E4E030B
.long 0xE07C1000, 0x8003200D
.long 0xE07C1010, 0x8003240D
.long 0xD0CC0030, 0x0001003E
.long 0xD1000018, 0x00C230F2
.long 0xD1000019, 0x00C232F2
.long 0xD3B14030, 0x18026118
.long 0xD0CC0030, 0x0001003E
.long 0xD100001A, 0x00C234F2
.long 0xD100001B, 0x00C236F2
.long 0xD3B14032, 0x1802651A
.long 0xD0CC0030, 0x0001003E
.long 0xD100001C, 0x00C238F2
.long 0xD100001D, 0x00C23AF2
.long 0xD3B14034, 0x1802691C
.long 0xD0CC0030, 0x0001003E
.long 0xD100001E, 0x00C23CF2
.long 0xD100001F, 0x00C23EF2
.long 0xD3B14036, 0x18026D1E
.long 0xD3B24004, 0x18026110
.long 0xD3B24006, 0x18026512
.long 0xD3B24008, 0x18026914
.long 0xD3B2400A, 0x18026D16
.long 0xBEC41E3A
.long 0x7E600304
.long 0x7E620305
.long 0x7E640306
.long 0x7E660307
.long 0x7E680308
.long 0x7E6A0309
.long 0x7E6C030A
.long 0x7E6E030B
.long 0xE07C1000, 0x80033028
.long 0xE07C1010, 0x80033428
	;; [unrolled: 31-line block ×4, first 2 shown]
.long 0xBF800000
.long 0xBF822B19
.long 0x864614FF, 0x000000FF
.long 0x804709C1
.long 0xBF094702
	;; [unrolled: 1-line block ×6, first 2 shown]
.long 0x924815FF, 0x00000174
.long 0x8EC89048
.long 0x9247FF15, 0x00005D18
.long 0x80484847
.long 0x82498049
	;; [unrolled: 1-line block ×4, first 2 shown]
.long 0x9248FF47, 0x00000160
.long 0x80C64815
.long 0x80470AC1
	;; [unrolled: 1-line block ×6, first 2 shown]
.long 0xD1FE000E, 0x020A0102
.long 0xE05C1000, 0x8004180E
	;; [unrolled: 1-line block ×5, first 2 shown]
.long 0x241E1E82
.long 0xBF8CC07F
	;; [unrolled: 1-line block ×3, first 2 shown]
.long 0xD9FE0000, 0x2000000F
.long 0xD9FE0010, 0x2400000F
.long 0x24200082
.long 0xE05C1000, 0x800F2810
.long 0xE05C1010, 0x800F2C10
.long 0x8E468222
.long 0x80104610
	;; [unrolled: 1-line block ×3, first 2 shown]
.long 0xE05C1000, 0x8004380E
.long 0xE05C1010, 0x80043C0E
	;; [unrolled: 1-line block ×19, first 2 shown]
.long 0xBF800001
.long 0x0A606028
	;; [unrolled: 1-line block ×18, first 2 shown]
.long 0xD0CC0030, 0x0001003E
.long 0xD1000028, 0x00C250F2
	;; [unrolled: 1-line block ×28, first 2 shown]
.long 0xBEC41E3A
.long 0x7E600304
	;; [unrolled: 1-line block ×9, first 2 shown]
.long 0xE07C1000, 0x8003300D
.long 0xE07C1010, 0x8003340D
.long 0xBF8C0F71
.long 0xD0CC0030, 0x0001003E
.long 0xD1000028, 0x00C250F2
	;; [unrolled: 1-line block ×28, first 2 shown]
.long 0xBEC41E3A
.long 0x7E800304
	;; [unrolled: 1-line block ×12, first 2 shown]
.long 0xE07C1000, 0x8003400D
.long 0xE07C1010, 0x8003440D
.long 0xBF800000
.long 0x8E468222
	;; [unrolled: 1-line block ×4, first 2 shown]
.long 0xE05C1000, 0x8004180E
.long 0xE05C1010, 0x80041C0E
	;; [unrolled: 1-line block ×4, first 2 shown]
.long 0x241E1E82
.long 0xD9FE0000, 0x2000000F
.long 0xD9FE0010, 0x2400000F
	;; [unrolled: 1-line block ×4, first 2 shown]
.long 0x8E468222
.long 0x80104610
	;; [unrolled: 1-line block ×3, first 2 shown]
.long 0xE05C1000, 0x8004380E
.long 0xE05C1010, 0x80043C0E
	;; [unrolled: 1-line block ×18, first 2 shown]
.long 0xBF800001
.long 0x0A606028
	;; [unrolled: 1-line block ×18, first 2 shown]
.long 0xD0CC0030, 0x0001003E
.long 0xD1000028, 0x00C250F2
	;; [unrolled: 1-line block ×28, first 2 shown]
.long 0xBEC41E3A
.long 0x7E600304
	;; [unrolled: 1-line block ×12, first 2 shown]
.long 0xE07C1000, 0x8003300D
.long 0xE07C1010, 0x8003340D
.long 0xBF8C0F71
.long 0xD0CC0030, 0x0001003E
.long 0xD1000028, 0x00C250F2
	;; [unrolled: 1-line block ×28, first 2 shown]
.long 0xBEC41E3A
.long 0x7E800304
	;; [unrolled: 1-line block ×12, first 2 shown]
.long 0xE07C1000, 0x8003400D
.long 0xE07C1010, 0x8003440D
.long 0xBF800000
.long 0x9246FF22, 0x00000074
.long 0x80104610
.long 0x82118011
.long 0xE05C1000, 0x8004180E
.long 0xE05C1010, 0x80041C0E
	;; [unrolled: 1-line block ×4, first 2 shown]
.long 0x241E1E82
.long 0xD9FE0000, 0x2000000F
.long 0xD9FE0010, 0x2400000F
	;; [unrolled: 1-line block ×4, first 2 shown]
.long 0x8E468222
.long 0x80104610
.long 0x82118011
.long 0xE05C1000, 0x8004380E
.long 0xE05C1010, 0x80043C0E
	;; [unrolled: 1-line block ×18, first 2 shown]
.long 0xBF800001
.long 0x0A606028
	;; [unrolled: 1-line block ×18, first 2 shown]
.long 0xD0CC0030, 0x0001003E
.long 0xD1000028, 0x00C250F2
.long 0xD1000029, 0x00C252F2
.long 0xD3B14030, 0x18026128
.long 0xD0CC0030, 0x0001003E
.long 0xD100002A, 0x00C254F2
.long 0xD100002B, 0x00C256F2
.long 0xD3B14032, 0x1802652A
.long 0xD0CC0030, 0x0001003E
.long 0xD100002C, 0x00C258F2
.long 0xD100002D, 0x00C25AF2
.long 0xD3B14034, 0x1802692C
.long 0xD0CC0030, 0x0001003E
.long 0xD100002E, 0x00C25CF2
.long 0xD100002F, 0x00C25EF2
.long 0xD3B14036, 0x18026D2E
.long 0xD13B0030, 0x00005318
.long 0xD13B0031, 0x00005319
.long 0xD13B0032, 0x0000531A
.long 0xD13B0033, 0x0000531B
.long 0xD13B0034, 0x0000531C
.long 0xD13B0035, 0x0000531D
.long 0xD13B0036, 0x0000531E
.long 0xD13B0037, 0x0000531F
.long 0xD3B24004, 0x18026120
.long 0xD3B24006, 0x18026522
.long 0xD3B24008, 0x18026924
.long 0xD3B2400A, 0x18026D26
.long 0xBEC41E3A
.long 0x7E600304
	;; [unrolled: 1-line block ×9, first 2 shown]
.long 0x9246FF20, 0x00000074
.long 0x800C460C
.long 0x820D800D
.long 0xE07C1000, 0x8003300D
.long 0xE07C1010, 0x8003340D
.long 0xBF8C0F71
.long 0xD0CC0030, 0x0001003E
.long 0xD1000028, 0x00C250F2
	;; [unrolled: 1-line block ×28, first 2 shown]
.long 0xBEC41E3A
.long 0x7E800304
	;; [unrolled: 1-line block ×12, first 2 shown]
.long 0xE07C1000, 0x8003400D
.long 0xE07C1010, 0x8003440D
.long 0xBF800000
.long 0x8E468222
	;; [unrolled: 1-line block ×4, first 2 shown]
.long 0xE05C1000, 0x8004180E
.long 0xE05C1010, 0x80041C0E
.long 0x924602FF, 0x00000100
.long 0xD135000F, 0x00008D00
.long 0x241E1E82
.long 0xD9FE0000, 0x2000000F
.long 0xD9FE0010, 0x2400000F
	;; [unrolled: 1-line block ×4, first 2 shown]
.long 0x8E468222
.long 0x80104610
	;; [unrolled: 1-line block ×3, first 2 shown]
.long 0xE05C1000, 0x8004380E
.long 0xE05C1010, 0x80043C0E
	;; [unrolled: 1-line block ×18, first 2 shown]
.long 0xBF800001
.long 0x0A606028
	;; [unrolled: 1-line block ×18, first 2 shown]
.long 0xD0CC0030, 0x0001003E
.long 0xD1000028, 0x00C250F2
.long 0xD1000029, 0x00C252F2
.long 0xD3B14030, 0x18026128
.long 0xD0CC0030, 0x0001003E
.long 0xD100002A, 0x00C254F2
.long 0xD100002B, 0x00C256F2
.long 0xD3B14032, 0x1802652A
.long 0xD0CC0030, 0x0001003E
.long 0xD100002C, 0x00C258F2
.long 0xD100002D, 0x00C25AF2
.long 0xD3B14034, 0x1802692C
.long 0xD0CC0030, 0x0001003E
.long 0xD100002E, 0x00C25CF2
.long 0xD100002F, 0x00C25EF2
.long 0xD3B14036, 0x18026D2E
.long 0xD13B0030, 0x00005318
.long 0xD13B0031, 0x00005319
.long 0xD13B0032, 0x0000531A
.long 0xD13B0033, 0x0000531B
.long 0xD13B0034, 0x0000531C
.long 0xD13B0035, 0x0000531D
.long 0xD13B0036, 0x0000531E
.long 0xD13B0037, 0x0000531F
.long 0xD3B24004, 0x18026120
.long 0xD3B24006, 0x18026522
.long 0xD3B24008, 0x18026924
.long 0xD3B2400A, 0x18026D26
.long 0xBEC41E3A
.long 0x7E600304
	;; [unrolled: 1-line block ×12, first 2 shown]
.long 0xE07C1000, 0x8003300D
.long 0xE07C1010, 0x8003340D
.long 0xBF8C0F71
.long 0xD0CC0030, 0x0001003E
.long 0xD1000028, 0x00C250F2
	;; [unrolled: 1-line block ×28, first 2 shown]
.long 0xBEC41E3A
.long 0x7E800304
	;; [unrolled: 1-line block ×12, first 2 shown]
.long 0xE07C1000, 0x8003400D
.long 0xE07C1010, 0x8003440D
.long 0xBF800000
.long 0x9246FF22, 0x00000074
.long 0x80104610
.long 0x82118011
.long 0xE05C1000, 0x8004180E
.long 0xE05C1010, 0x80041C0E
	;; [unrolled: 1-line block ×4, first 2 shown]
.long 0x241E1E82
.long 0xD9FE0000, 0x2000000F
.long 0xD9FE0010, 0x2400000F
	;; [unrolled: 1-line block ×4, first 2 shown]
.long 0x8E468222
.long 0x80104610
	;; [unrolled: 1-line block ×3, first 2 shown]
.long 0xE05C1000, 0x8004380E
.long 0xE05C1010, 0x80043C0E
	;; [unrolled: 1-line block ×18, first 2 shown]
.long 0xBF800001
.long 0x0A606028
	;; [unrolled: 1-line block ×18, first 2 shown]
.long 0xD0CC0030, 0x0001003E
.long 0xD1000028, 0x00C250F2
	;; [unrolled: 1-line block ×28, first 2 shown]
.long 0xBEC41E3A
.long 0x7E600304
	;; [unrolled: 1-line block ×9, first 2 shown]
.long 0x9246FF20, 0x00000074
.long 0x800C460C
.long 0x820D800D
.long 0xE07C1000, 0x8003300D
.long 0xE07C1010, 0x8003340D
.long 0xBF8C0F71
.long 0xD0CC0030, 0x0001003E
.long 0xD1000028, 0x00C250F2
	;; [unrolled: 1-line block ×28, first 2 shown]
.long 0xBEC41E3A
.long 0x7E800304
	;; [unrolled: 1-line block ×12, first 2 shown]
.long 0xE07C1000, 0x8003400D
.long 0xE07C1010, 0x8003440D
.long 0xBF800000
.long 0x8E468222
	;; [unrolled: 1-line block ×4, first 2 shown]
.long 0xE05C1000, 0x8004180E
.long 0xE05C1010, 0x80041C0E
	;; [unrolled: 1-line block ×4, first 2 shown]
.long 0x241E1E82
.long 0xD9FE0000, 0x2000000F
.long 0xD9FE0010, 0x2400000F
	;; [unrolled: 1-line block ×4, first 2 shown]
.long 0x8E468222
.long 0x80104610
	;; [unrolled: 1-line block ×3, first 2 shown]
.long 0xE05C1000, 0x8004380E
.long 0xE05C1010, 0x80043C0E
	;; [unrolled: 1-line block ×18, first 2 shown]
.long 0xBF800001
.long 0x0A606028
.long 0x0A626228
.long 0x0A646428
.long 0x0A666628
.long 0x0A686828
.long 0x0A6A6A28
.long 0x0A6C6C28
.long 0x0A6E6E28
.long 0x0A808028
.long 0x0A828228
.long 0x0A848428
.long 0x0A868628
.long 0x0A888828
.long 0x0A8A8A28
.long 0x0A8C8C28
.long 0x0A8E8E28
.long 0xBF8C0072
.long 0xD0CC0030, 0x0001003E
.long 0xD1000028, 0x00C250F2
	;; [unrolled: 1-line block ×28, first 2 shown]
.long 0xBEC41E3A
.long 0x7E600304
	;; [unrolled: 1-line block ×12, first 2 shown]
.long 0xE07C1000, 0x8003300D
.long 0xE07C1010, 0x8003340D
.long 0xBF8C0F71
.long 0xD0CC0030, 0x0001003E
.long 0xD1000028, 0x00C250F2
.long 0xD1000029, 0x00C252F2
.long 0xD3B14040, 0x18028128
.long 0xD0CC0030, 0x0001003E
.long 0xD100002A, 0x00C254F2
.long 0xD100002B, 0x00C256F2
.long 0xD3B14042, 0x1802852A
.long 0xD0CC0030, 0x0001003E
.long 0xD100002C, 0x00C258F2
.long 0xD100002D, 0x00C25AF2
.long 0xD3B14044, 0x1802892C
.long 0xD0CC0030, 0x0001003E
.long 0xD100002E, 0x00C25CF2
.long 0xD100002F, 0x00C25EF2
.long 0xD3B14046, 0x18028D2E
.long 0xD13B0040, 0x00005338
.long 0xD13B0041, 0x00005339
.long 0xD13B0042, 0x0000533A
.long 0xD13B0043, 0x0000533B
.long 0xD13B0044, 0x0000533C
.long 0xD13B0045, 0x0000533D
.long 0xD13B0046, 0x0000533E
.long 0xD13B0047, 0x0000533F
.long 0xD3B24004, 0x18028120
.long 0xD3B24006, 0x18028522
.long 0xD3B24008, 0x18028924
.long 0xD3B2400A, 0x18028D26
.long 0xBEC41E3A
.long 0x7E800304
	;; [unrolled: 1-line block ×12, first 2 shown]
.long 0xE07C1000, 0x8003400D
.long 0xE07C1010, 0x8003440D
.long 0xBF800000
.long 0x9246FF22, 0x00000074
.long 0x80104610
.long 0x82118011
.long 0xE05C1000, 0x8004180E
.long 0xE05C1010, 0x80041C0E
	;; [unrolled: 1-line block ×4, first 2 shown]
.long 0x241E1E82
.long 0xD9FE0000, 0x2000000F
.long 0xD9FE0010, 0x2400000F
	;; [unrolled: 1-line block ×4, first 2 shown]
.long 0x8E468222
.long 0x80104610
	;; [unrolled: 1-line block ×3, first 2 shown]
.long 0xE05C1000, 0x8004380E
.long 0xE05C1010, 0x80043C0E
	;; [unrolled: 1-line block ×18, first 2 shown]
.long 0xBF800001
.long 0x0A606028
	;; [unrolled: 1-line block ×18, first 2 shown]
.long 0xD0CC0030, 0x0001003E
.long 0xD1000028, 0x00C250F2
	;; [unrolled: 1-line block ×28, first 2 shown]
.long 0xBEC41E3A
.long 0x7E600304
	;; [unrolled: 1-line block ×9, first 2 shown]
.long 0x9246FF20, 0x00000074
.long 0x800C460C
.long 0x820D800D
.long 0xE07C1000, 0x8003300D
.long 0xE07C1010, 0x8003340D
.long 0xBF8C0F71
.long 0xD0CC0030, 0x0001003E
.long 0xD1000028, 0x00C250F2
	;; [unrolled: 1-line block ×28, first 2 shown]
.long 0xBEC41E3A
.long 0x7E800304
.long 0x7E820305
.long 0x7E840306
.long 0x7E860307
.long 0x7E880308
.long 0x7E8A0309
.long 0x7E8C030A
.long 0x7E8E030B
.long 0x8E468220
.long 0x800C460C
.long 0x820D800D
.long 0xE07C1000, 0x8003400D
.long 0xE07C1010, 0x8003440D
.long 0xBF800000
.long 0x8E468222
	;; [unrolled: 1-line block ×4, first 2 shown]
.long 0xE05C1000, 0x8004180E
.long 0xE05C1010, 0x80041C0E
	;; [unrolled: 1-line block ×4, first 2 shown]
.long 0x241E1E82
.long 0xD9FE0000, 0x2000000F
.long 0xD9FE0010, 0x2400000F
.long 0xE05C1000, 0x800F2810
.long 0xE05C1010, 0x800F2C10
.long 0x8E468222
.long 0x80104610
	;; [unrolled: 1-line block ×3, first 2 shown]
.long 0xE05C1000, 0x8004380E
.long 0xE05C1010, 0x80043C0E
	;; [unrolled: 1-line block ×18, first 2 shown]
.long 0xBF800001
.long 0x0A606028
	;; [unrolled: 1-line block ×18, first 2 shown]
.long 0xD0CC0030, 0x0001003E
.long 0xD1000028, 0x00C250F2
	;; [unrolled: 1-line block ×28, first 2 shown]
.long 0xBEC41E3A
.long 0x7E600304
	;; [unrolled: 1-line block ×12, first 2 shown]
.long 0xE07C1000, 0x8003300D
.long 0xE07C1010, 0x8003340D
.long 0xBF8C0F71
.long 0xD0CC0030, 0x0001003E
.long 0xD1000028, 0x00C250F2
	;; [unrolled: 1-line block ×28, first 2 shown]
.long 0xBEC41E3A
.long 0x7E800304
	;; [unrolled: 1-line block ×12, first 2 shown]
.long 0xE07C1000, 0x8003400D
.long 0xE07C1010, 0x8003440D
.long 0xBF800000
.long 0x9246FF22, 0x00000074
.long 0x80104610
.long 0x82118011
.long 0xE05C1000, 0x8004180E
.long 0xE05C1010, 0x80041C0E
	;; [unrolled: 1-line block ×4, first 2 shown]
.long 0x241E1E82
.long 0xD9FE0000, 0x2000000F
.long 0xD9FE0010, 0x2400000F
	;; [unrolled: 1-line block ×4, first 2 shown]
.long 0x8E468222
.long 0x80104610
	;; [unrolled: 1-line block ×3, first 2 shown]
.long 0xE05C1000, 0x8004380E
.long 0xE05C1010, 0x80043C0E
	;; [unrolled: 1-line block ×18, first 2 shown]
.long 0xBF800001
.long 0x0A606028
	;; [unrolled: 1-line block ×18, first 2 shown]
.long 0xD0CC0030, 0x0001003E
.long 0xD1000028, 0x00C250F2
	;; [unrolled: 1-line block ×28, first 2 shown]
.long 0xBEC41E3A
.long 0x7E600304
	;; [unrolled: 1-line block ×9, first 2 shown]
.long 0x9246FF20, 0x00000074
.long 0x800C460C
.long 0x820D800D
.long 0xE07C1000, 0x8003300D
.long 0xE07C1010, 0x8003340D
.long 0xBF8C0F71
.long 0xD0CC0030, 0x0001003E
.long 0xD1000028, 0x00C250F2
	;; [unrolled: 1-line block ×28, first 2 shown]
.long 0xBEC41E3A
.long 0x7E800304
	;; [unrolled: 1-line block ×12, first 2 shown]
.long 0xE07C1000, 0x8003400D
.long 0xE07C1010, 0x8003440D
.long 0xBF800000
.long 0x8E468222
.long 0x80104610
.long 0x82118011
.long 0xE05C1000, 0x8004180E
.long 0xE05C1010, 0x80041C0E
	;; [unrolled: 1-line block ×4, first 2 shown]
.long 0x241E1E82
.long 0xD9FE0000, 0x2000000F
.long 0xD9FE0010, 0x2400000F
.long 0xE05C1000, 0x800F2810
.long 0xE05C1010, 0x800F2C10
.long 0x8E468222
.long 0x80104610
	;; [unrolled: 1-line block ×3, first 2 shown]
.long 0xE05C1000, 0x8004380E
.long 0xE05C1010, 0x80043C0E
.long 0xD3D84030, 0x18000182
.long 0xD3D84031, 0x18000186
.long 0xD3D84032, 0x1800018A
.long 0xD3D84033, 0x1800018E
.long 0xD3D84034, 0x18000192
.long 0xD3D84035, 0x18000196
.long 0xD3D84036, 0x1800019A
.long 0xD3D84037, 0x1800019E
.long 0xD3D84040, 0x18000183
.long 0xD3D84041, 0x18000187
.long 0xD3D84042, 0x1800018B
.long 0xD3D84043, 0x1800018F
.long 0xD3D84044, 0x18000193
.long 0xD3D84045, 0x18000197
.long 0xD3D84046, 0x1800019B
.long 0xD3D84047, 0x1800019F
.long 0xBF800001
.long 0x0A606028
	;; [unrolled: 1-line block ×18, first 2 shown]
.long 0xD0CC0030, 0x0001003E
.long 0xD1000028, 0x00C250F2
	;; [unrolled: 1-line block ×28, first 2 shown]
.long 0xBEC41E3A
.long 0x7E600304
.long 0x7E620305
.long 0x7E640306
.long 0x7E660307
.long 0x7E680308
.long 0x7E6A0309
.long 0x7E6C030A
.long 0x7E6E030B
.long 0x8E468220
.long 0x800C460C
.long 0x820D800D
.long 0xE07C1000, 0x8003300D
.long 0xE07C1010, 0x8003340D
.long 0xBF8C0F71
.long 0xD0CC0030, 0x0001003E
.long 0xD1000028, 0x00C250F2
	;; [unrolled: 1-line block ×28, first 2 shown]
.long 0xBEC41E3A
.long 0x7E800304
	;; [unrolled: 1-line block ×12, first 2 shown]
.long 0xE07C1000, 0x8003400D
.long 0xE07C1010, 0x8003440D
.long 0xBF800000
.long 0x9246FF22, 0x00000074
.long 0x80104610
.long 0x82118011
.long 0xE05C1000, 0x8004180E
.long 0xE05C1010, 0x80041C0E
	;; [unrolled: 1-line block ×4, first 2 shown]
.long 0x241E1E82
.long 0xD9FE0000, 0x2000000F
.long 0xD9FE0010, 0x2400000F
	;; [unrolled: 1-line block ×4, first 2 shown]
.long 0x8E468222
.long 0x80104610
	;; [unrolled: 1-line block ×3, first 2 shown]
.long 0xE05C1000, 0x8004380E
.long 0xE05C1010, 0x80043C0E
	;; [unrolled: 1-line block ×18, first 2 shown]
.long 0xBF800001
.long 0x0A606028
	;; [unrolled: 1-line block ×18, first 2 shown]
.long 0xD0CC0030, 0x0001003E
.long 0xD1000028, 0x00C250F2
	;; [unrolled: 1-line block ×28, first 2 shown]
.long 0xBEC41E3A
.long 0x7E600304
	;; [unrolled: 1-line block ×9, first 2 shown]
.long 0x9246FF20, 0x00000074
.long 0x800C460C
.long 0x820D800D
.long 0xE07C1000, 0x8003300D
.long 0xE07C1010, 0x8003340D
.long 0xBF8C0F71
.long 0xD0CC0030, 0x0001003E
.long 0xD1000028, 0x00C250F2
.long 0xD1000029, 0x00C252F2
.long 0xD3B14040, 0x18028128
.long 0xD0CC0030, 0x0001003E
.long 0xD100002A, 0x00C254F2
.long 0xD100002B, 0x00C256F2
.long 0xD3B14042, 0x1802852A
.long 0xD0CC0030, 0x0001003E
.long 0xD100002C, 0x00C258F2
.long 0xD100002D, 0x00C25AF2
.long 0xD3B14044, 0x1802892C
.long 0xD0CC0030, 0x0001003E
.long 0xD100002E, 0x00C25CF2
.long 0xD100002F, 0x00C25EF2
.long 0xD3B14046, 0x18028D2E
.long 0xD13B0040, 0x00005338
.long 0xD13B0041, 0x00005339
.long 0xD13B0042, 0x0000533A
.long 0xD13B0043, 0x0000533B
.long 0xD13B0044, 0x0000533C
.long 0xD13B0045, 0x0000533D
.long 0xD13B0046, 0x0000533E
.long 0xD13B0047, 0x0000533F
.long 0xD3B24004, 0x18028120
.long 0xD3B24006, 0x18028522
.long 0xD3B24008, 0x18028924
.long 0xD3B2400A, 0x18028D26
.long 0xBEC41E3A
.long 0x7E800304
	;; [unrolled: 1-line block ×12, first 2 shown]
.long 0xE07C1000, 0x8003400D
.long 0xE07C1010, 0x8003440D
.long 0xBF800000
.long 0x8E468222
	;; [unrolled: 1-line block ×4, first 2 shown]
.long 0xE05C1000, 0x8004180E
.long 0xE05C1010, 0x80041C0E
	;; [unrolled: 1-line block ×4, first 2 shown]
.long 0x241E1E82
.long 0xD9FE0000, 0x2000000F
.long 0xD9FE0010, 0x2400000F
	;; [unrolled: 1-line block ×4, first 2 shown]
.long 0x8E468222
.long 0x80104610
	;; [unrolled: 1-line block ×3, first 2 shown]
.long 0xE05C1000, 0x8004380E
.long 0xE05C1010, 0x80043C0E
	;; [unrolled: 1-line block ×18, first 2 shown]
.long 0xBF800001
.long 0x0A606028
	;; [unrolled: 1-line block ×18, first 2 shown]
.long 0xD0CC0030, 0x0001003E
.long 0xD1000028, 0x00C250F2
	;; [unrolled: 1-line block ×28, first 2 shown]
.long 0xBEC41E3A
.long 0x7E600304
	;; [unrolled: 1-line block ×12, first 2 shown]
.long 0xE07C1000, 0x8003300D
.long 0xE07C1010, 0x8003340D
.long 0xBF8C0F71
.long 0xD0CC0030, 0x0001003E
.long 0xD1000028, 0x00C250F2
	;; [unrolled: 1-line block ×28, first 2 shown]
.long 0xBEC41E3A
.long 0x7E800304
	;; [unrolled: 1-line block ×12, first 2 shown]
.long 0xE07C1000, 0x8003400D
.long 0xE07C1010, 0x8003440D
.long 0xBF800000
.long 0x9246FF22, 0x00000074
.long 0x80104610
.long 0x82118011
.long 0xE05C1000, 0x8004180E
.long 0xE05C1010, 0x80041C0E
	;; [unrolled: 1-line block ×4, first 2 shown]
.long 0x241E1E82
.long 0xD9FE0000, 0x2000000F
.long 0xD9FE0010, 0x2400000F
	;; [unrolled: 1-line block ×4, first 2 shown]
.long 0x8E468222
.long 0x80104610
	;; [unrolled: 1-line block ×3, first 2 shown]
.long 0xE05C1000, 0x8004380E
.long 0xE05C1010, 0x80043C0E
.long 0xD3D84030, 0x180001C0
.long 0xD3D84031, 0x180001C4
.long 0xD3D84032, 0x180001C8
.long 0xD3D84033, 0x180001CC
.long 0xD3D84034, 0x180001D0
.long 0xD3D84035, 0x180001D4
.long 0xD3D84036, 0x180001D8
.long 0xD3D84037, 0x180001DC
.long 0xD3D84040, 0x180001C1
.long 0xD3D84041, 0x180001C5
.long 0xD3D84042, 0x180001C9
.long 0xD3D84043, 0x180001CD
.long 0xD3D84044, 0x180001D1
.long 0xD3D84045, 0x180001D5
.long 0xD3D84046, 0x180001D9
.long 0xD3D84047, 0x180001DD
.long 0xBF800001
.long 0x0A606028
	;; [unrolled: 1-line block ×18, first 2 shown]
.long 0xD0CC0030, 0x0001003E
.long 0xD1000028, 0x00C250F2
.long 0xD1000029, 0x00C252F2
.long 0xD3B14030, 0x18026128
.long 0xD0CC0030, 0x0001003E
.long 0xD100002A, 0x00C254F2
.long 0xD100002B, 0x00C256F2
.long 0xD3B14032, 0x1802652A
.long 0xD0CC0030, 0x0001003E
.long 0xD100002C, 0x00C258F2
.long 0xD100002D, 0x00C25AF2
.long 0xD3B14034, 0x1802692C
.long 0xD0CC0030, 0x0001003E
.long 0xD100002E, 0x00C25CF2
.long 0xD100002F, 0x00C25EF2
.long 0xD3B14036, 0x18026D2E
.long 0xD13B0030, 0x00005318
.long 0xD13B0031, 0x00005319
.long 0xD13B0032, 0x0000531A
.long 0xD13B0033, 0x0000531B
.long 0xD13B0034, 0x0000531C
.long 0xD13B0035, 0x0000531D
.long 0xD13B0036, 0x0000531E
.long 0xD13B0037, 0x0000531F
.long 0xD3B24004, 0x18026120
.long 0xD3B24006, 0x18026522
.long 0xD3B24008, 0x18026924
.long 0xD3B2400A, 0x18026D26
.long 0xBEC41E3A
.long 0x7E600304
	;; [unrolled: 1-line block ×9, first 2 shown]
.long 0x9246FF20, 0x00000074
.long 0x800C460C
.long 0x820D800D
.long 0xE07C1000, 0x8003300D
.long 0xE07C1010, 0x8003340D
.long 0xBF8C0F71
.long 0xD0CC0030, 0x0001003E
.long 0xD1000028, 0x00C250F2
	;; [unrolled: 1-line block ×28, first 2 shown]
.long 0xBEC41E3A
.long 0x7E800304
	;; [unrolled: 1-line block ×12, first 2 shown]
.long 0xE07C1000, 0x8003400D
.long 0xE07C1010, 0x8003440D
.long 0xBF800000
.long 0x8E468222
.long 0x80104610
.long 0x82118011
.long 0xE05C1000, 0x8004180E
.long 0xE05C1010, 0x80041C0E
	;; [unrolled: 1-line block ×4, first 2 shown]
.long 0x241E1E82
.long 0xD9FE0000, 0x2000000F
.long 0xD9FE0010, 0x2400000F
	;; [unrolled: 1-line block ×4, first 2 shown]
.long 0x8E468222
.long 0x80104610
	;; [unrolled: 1-line block ×3, first 2 shown]
.long 0xE05C1000, 0x8004380E
.long 0xE05C1010, 0x80043C0E
	;; [unrolled: 1-line block ×18, first 2 shown]
.long 0xBF800001
.long 0x0A606028
	;; [unrolled: 1-line block ×18, first 2 shown]
.long 0xD0CC0030, 0x0001003E
.long 0xD1000028, 0x00C250F2
	;; [unrolled: 1-line block ×28, first 2 shown]
.long 0xBEC41E3A
.long 0x7E600304
	;; [unrolled: 1-line block ×12, first 2 shown]
.long 0xE07C1000, 0x8003300D
.long 0xE07C1010, 0x8003340D
.long 0xBF8C0F71
.long 0xD0CC0030, 0x0001003E
.long 0xD1000028, 0x00C250F2
	;; [unrolled: 1-line block ×28, first 2 shown]
.long 0xBEC41E3A
.long 0x7E800304
	;; [unrolled: 1-line block ×12, first 2 shown]
.long 0xE07C1000, 0x8003400D
.long 0xE07C1010, 0x8003440D
.long 0xBF800000
.long 0x9246FF22, 0x00000074
.long 0x80104610
.long 0x82118011
.long 0xE05C1000, 0x8004180E
.long 0xE05C1010, 0x80041C0E
.long 0x924602FF, 0x00000100
.long 0xD135000F, 0x00008D00
.long 0x241E1E82
.long 0xD9FE0000, 0x2000000F
.long 0xD9FE0010, 0x2400000F
	;; [unrolled: 1-line block ×4, first 2 shown]
.long 0x8E468222
.long 0x80104610
	;; [unrolled: 1-line block ×3, first 2 shown]
.long 0xE05C1000, 0x8004380E
.long 0xE05C1010, 0x80043C0E
	;; [unrolled: 1-line block ×18, first 2 shown]
.long 0xBF800001
.long 0x0A606028
	;; [unrolled: 1-line block ×18, first 2 shown]
.long 0xD0CC0030, 0x0001003E
.long 0xD1000028, 0x00C250F2
	;; [unrolled: 1-line block ×28, first 2 shown]
.long 0xBEC41E3A
.long 0x7E600304
	;; [unrolled: 1-line block ×9, first 2 shown]
.long 0x9246FF20, 0x00000074
.long 0x800C460C
.long 0x820D800D
.long 0xE07C1000, 0x8003300D
.long 0xE07C1010, 0x8003340D
.long 0xBF8C0F71
.long 0xD0CC0030, 0x0001003E
.long 0xD1000028, 0x00C250F2
	;; [unrolled: 1-line block ×28, first 2 shown]
.long 0xBEC41E3A
.long 0x7E800304
	;; [unrolled: 1-line block ×12, first 2 shown]
.long 0xE07C1000, 0x8003400D
.long 0xE07C1010, 0x8003440D
.long 0xBF800000
.long 0x8E468222
	;; [unrolled: 1-line block ×4, first 2 shown]
.long 0xE05C1000, 0x8004180E
.long 0xE05C1010, 0x80041C0E
	;; [unrolled: 1-line block ×4, first 2 shown]
.long 0x241E1E82
.long 0xD9FE0000, 0x2000000F
.long 0xD9FE0010, 0x2400000F
	;; [unrolled: 1-line block ×4, first 2 shown]
.long 0x8E468222
.long 0x80104610
	;; [unrolled: 1-line block ×3, first 2 shown]
.long 0xE05C1000, 0x8004380E
.long 0xE05C1010, 0x80043C0E
	;; [unrolled: 1-line block ×18, first 2 shown]
.long 0xBF800001
.long 0x0A606028
	;; [unrolled: 1-line block ×18, first 2 shown]
.long 0xD0CC0030, 0x0001003E
.long 0xD1000028, 0x00C250F2
	;; [unrolled: 1-line block ×28, first 2 shown]
.long 0xBEC41E3A
.long 0x7E600304
	;; [unrolled: 1-line block ×12, first 2 shown]
.long 0xE07C1000, 0x8003300D
.long 0xE07C1010, 0x8003340D
.long 0xBF8C0F71
.long 0xD0CC0030, 0x0001003E
.long 0xD1000028, 0x00C250F2
	;; [unrolled: 1-line block ×28, first 2 shown]
.long 0xBEC41E3A
.long 0x7E800304
	;; [unrolled: 1-line block ×12, first 2 shown]
.long 0xE07C1000, 0x8003400D
.long 0xE07C1010, 0x8003440D
.long 0xBF800000
.long 0x9246FF22, 0x00000074
.long 0x80104610
.long 0x82118011
.long 0xE05C1000, 0x8004180E
.long 0xE05C1010, 0x80041C0E
	;; [unrolled: 1-line block ×4, first 2 shown]
.long 0x241E1E82
.long 0xD9FE0000, 0x2000000F
.long 0xD9FE0010, 0x2400000F
	;; [unrolled: 1-line block ×4, first 2 shown]
.long 0x8E468222
.long 0x80104610
	;; [unrolled: 1-line block ×3, first 2 shown]
.long 0xE05C1000, 0x8004380E
.long 0xE05C1010, 0x80043C0E
.long 0x7E60038C
.long 0x7E620390
.long 0x7E640394
.long 0x7E660398
.long 0x7E68039C
.long 0x7E6A03A0
.long 0x7E6C03A4
.long 0x7E6E03A8
.long 0x7E80038D
.long 0x7E820391
.long 0x7E840395
.long 0x7E860399
.long 0x7E88039D
.long 0x7E8A03A1
.long 0x7E8C03A5
.long 0x7E8E03A9
.long 0xBF800001
.long 0x0A606028
.long 0x0A626228
.long 0x0A646428
.long 0x0A666628
.long 0x0A686828
.long 0x0A6A6A28
.long 0x0A6C6C28
.long 0x0A6E6E28
.long 0x0A808028
.long 0x0A828228
.long 0x0A848428
.long 0x0A868628
.long 0x0A888828
.long 0x0A8A8A28
.long 0x0A8C8C28
.long 0x0A8E8E28
.long 0xBF8C0072
.long 0xD0CC0030, 0x0001003E
.long 0xD1000028, 0x00C250F2
	;; [unrolled: 1-line block ×28, first 2 shown]
.long 0xBEC41E3A
.long 0x7E600304
	;; [unrolled: 1-line block ×9, first 2 shown]
.long 0x9246FF20, 0x00000074
.long 0x800C460C
.long 0x820D800D
.long 0xE07C1000, 0x8003300D
.long 0xE07C1010, 0x8003340D
.long 0xBF8C0F71
.long 0xD0CC0030, 0x0001003E
.long 0xD1000028, 0x00C250F2
	;; [unrolled: 1-line block ×28, first 2 shown]
.long 0xBEC41E3A
.long 0x7E800304
	;; [unrolled: 1-line block ×12, first 2 shown]
.long 0xE07C1000, 0x8003400D
.long 0xE07C1010, 0x8003440D
.long 0xBF800000
.long 0x8E468222
	;; [unrolled: 1-line block ×4, first 2 shown]
.long 0xE05C1000, 0x8004180E
.long 0xE05C1010, 0x80041C0E
	;; [unrolled: 1-line block ×4, first 2 shown]
.long 0x241E1E82
.long 0xD9FE0000, 0x2000000F
.long 0xD9FE0010, 0x2400000F
	;; [unrolled: 1-line block ×4, first 2 shown]
.long 0x8E468222
.long 0x80104610
	;; [unrolled: 1-line block ×3, first 2 shown]
.long 0xE05C1000, 0x8004380E
.long 0xE05C1010, 0x80043C0E
.long 0x7E60038E
.long 0x7E620392
.long 0x7E640396
.long 0x7E66039A
.long 0x7E68039E
.long 0x7E6A03A2
.long 0x7E6C03A6
.long 0x7E6E03AA
.long 0x7E80038F
.long 0x7E820393
.long 0x7E840397
.long 0x7E86039B
.long 0x7E88039F
.long 0x7E8A03A3
.long 0x7E8C03A7
.long 0x7E8E03AB
.long 0xBF800001
.long 0x0A606028
.long 0x0A626228
.long 0x0A646428
.long 0x0A666628
.long 0x0A686828
.long 0x0A6A6A28
.long 0x0A6C6C28
.long 0x0A6E6E28
.long 0x0A808028
.long 0x0A828228
.long 0x0A848428
.long 0x0A868628
.long 0x0A888828
.long 0x0A8A8A28
.long 0x0A8C8C28
.long 0x0A8E8E28
.long 0xBF8C0072
.long 0xD0CC0030, 0x0001003E
.long 0xD1000028, 0x00C250F2
.long 0xD1000029, 0x00C252F2
.long 0xD3B14030, 0x18026128
.long 0xD0CC0030, 0x0001003E
.long 0xD100002A, 0x00C254F2
.long 0xD100002B, 0x00C256F2
.long 0xD3B14032, 0x1802652A
.long 0xD0CC0030, 0x0001003E
.long 0xD100002C, 0x00C258F2
.long 0xD100002D, 0x00C25AF2
.long 0xD3B14034, 0x1802692C
.long 0xD0CC0030, 0x0001003E
.long 0xD100002E, 0x00C25CF2
.long 0xD100002F, 0x00C25EF2
.long 0xD3B14036, 0x18026D2E
.long 0xD13B0030, 0x00005318
.long 0xD13B0031, 0x00005319
.long 0xD13B0032, 0x0000531A
.long 0xD13B0033, 0x0000531B
.long 0xD13B0034, 0x0000531C
.long 0xD13B0035, 0x0000531D
.long 0xD13B0036, 0x0000531E
.long 0xD13B0037, 0x0000531F
.long 0xD3B24004, 0x18026120
.long 0xD3B24006, 0x18026522
.long 0xD3B24008, 0x18026924
.long 0xD3B2400A, 0x18026D26
.long 0xBEC41E3A
.long 0x7E600304
	;; [unrolled: 1-line block ×12, first 2 shown]
.long 0xE07C1000, 0x8003300D
.long 0xE07C1010, 0x8003340D
.long 0xBF8C0F71
.long 0xD0CC0030, 0x0001003E
.long 0xD1000028, 0x00C250F2
	;; [unrolled: 1-line block ×28, first 2 shown]
.long 0xBEC41E3A
.long 0x7E800304
	;; [unrolled: 1-line block ×12, first 2 shown]
.long 0xE07C1000, 0x8003400D
.long 0xE07C1010, 0x8003440D
.long 0xBF800000
.long 0x9246FF22, 0x00000074
.long 0x80104610
.long 0x82118011
.long 0xE05C1000, 0x8004180E
.long 0xE05C1010, 0x80041C0E
	;; [unrolled: 1-line block ×4, first 2 shown]
.long 0x241E1E82
.long 0xD9FE0000, 0x2000000F
.long 0xD9FE0010, 0x2400000F
	;; [unrolled: 1-line block ×4, first 2 shown]
.long 0x8E468222
.long 0x80104610
	;; [unrolled: 1-line block ×3, first 2 shown]
.long 0xE05C1000, 0x8004380E
.long 0xE05C1010, 0x80043C0E
.long 0x7E6003AC
.long 0x7E6203B0
	;; [unrolled: 1-line block ×34, first 2 shown]
.long 0xD0CC0030, 0x0001003E
.long 0xD1000028, 0x00C250F2
	;; [unrolled: 1-line block ×28, first 2 shown]
.long 0xBEC41E3A
.long 0x7E600304
	;; [unrolled: 1-line block ×9, first 2 shown]
.long 0x9246FF20, 0x00000074
.long 0x800C460C
.long 0x820D800D
.long 0xE07C1000, 0x8003300D
.long 0xE07C1010, 0x8003340D
.long 0xBF8C0F71
.long 0xD0CC0030, 0x0001003E
.long 0xD1000028, 0x00C250F2
	;; [unrolled: 1-line block ×28, first 2 shown]
.long 0xBEC41E3A
.long 0x7E800304
	;; [unrolled: 1-line block ×12, first 2 shown]
.long 0xE07C1000, 0x8003400D
.long 0xE07C1010, 0x8003440D
.long 0xBF800000
.long 0x8E468222
.long 0x80104610
.long 0x82118011
.long 0xE05C1000, 0x8004180E
.long 0xE05C1010, 0x80041C0E
	;; [unrolled: 1-line block ×4, first 2 shown]
.long 0x241E1E82
.long 0xD9FE0000, 0x2000000F
.long 0xD9FE0010, 0x2400000F
	;; [unrolled: 1-line block ×4, first 2 shown]
.long 0x8E468222
.long 0x80104610
	;; [unrolled: 1-line block ×3, first 2 shown]
.long 0xE05C1000, 0x8004380E
.long 0xE05C1010, 0x80043C0E
.long 0x7E6003AE
.long 0x7E6203B2
	;; [unrolled: 1-line block ×34, first 2 shown]
.long 0xD0CC0030, 0x0001003E
.long 0xD1000028, 0x00C250F2
	;; [unrolled: 1-line block ×28, first 2 shown]
.long 0xBEC41E3A
.long 0x7E600304
	;; [unrolled: 1-line block ×12, first 2 shown]
.long 0xE07C1000, 0x8003300D
.long 0xE07C1010, 0x8003340D
.long 0xBF8C0F71
.long 0xD0CC0030, 0x0001003E
.long 0xD1000028, 0x00C250F2
	;; [unrolled: 1-line block ×28, first 2 shown]
.long 0xBEC41E3A
.long 0x7E800304
	;; [unrolled: 1-line block ×12, first 2 shown]
.long 0xE07C1000, 0x8003400D
.long 0xE07C1010, 0x8003440D
.long 0xBF800000
.long 0x9246FF22, 0x00000074
.long 0x80104610
.long 0x82118011
.long 0xE05C1000, 0x8004180E
.long 0xE05C1010, 0x80041C0E
	;; [unrolled: 1-line block ×4, first 2 shown]
.long 0x241E1E82
.long 0xD9FE0000, 0x2000000F
.long 0xD9FE0010, 0x2400000F
	;; [unrolled: 1-line block ×4, first 2 shown]
.long 0x8E468222
.long 0x80104610
	;; [unrolled: 1-line block ×3, first 2 shown]
.long 0xE05C1000, 0x8004380E
.long 0xE05C1010, 0x80043C0E
.long 0x7E6003CC
.long 0x7E6203D0
	;; [unrolled: 1-line block ×34, first 2 shown]
.long 0xD0CC0030, 0x0001003E
.long 0xD1000028, 0x00C250F2
	;; [unrolled: 1-line block ×28, first 2 shown]
.long 0xBEC41E3A
.long 0x7E600304
	;; [unrolled: 1-line block ×9, first 2 shown]
.long 0x9246FF20, 0x00000074
.long 0x800C460C
.long 0x820D800D
.long 0xE07C1000, 0x8003300D
.long 0xE07C1010, 0x8003340D
.long 0xBF8C0F71
.long 0xD0CC0030, 0x0001003E
.long 0xD1000028, 0x00C250F2
	;; [unrolled: 1-line block ×28, first 2 shown]
.long 0xBEC41E3A
.long 0x7E800304
	;; [unrolled: 1-line block ×12, first 2 shown]
.long 0xE07C1000, 0x8003400D
.long 0xE07C1010, 0x8003440D
.long 0xBF800000
.long 0x8E468222
	;; [unrolled: 1-line block ×4, first 2 shown]
.long 0xE05C1000, 0x8004180E
.long 0xE05C1010, 0x80041C0E
	;; [unrolled: 1-line block ×4, first 2 shown]
.long 0x241E1E82
.long 0xD9FE0000, 0x2000000F
.long 0xD9FE0010, 0x2400000F
	;; [unrolled: 1-line block ×4, first 2 shown]
.long 0x8E468222
.long 0x80104610
	;; [unrolled: 1-line block ×3, first 2 shown]
.long 0xE05C1000, 0x8004380E
.long 0xE05C1010, 0x80043C0E
.long 0x7E6003CE
.long 0x7E6203D2
.long 0x7E6403D6
.long 0x7E6603DA
.long 0x7E6803DE
.long 0x7E6A03E2
.long 0x7E6C03E6
.long 0x7E6E03EA
.long 0x7E8003CF
.long 0x7E8203D3
.long 0x7E8403D7
.long 0x7E8603DB
.long 0x7E8803DF
.long 0x7E8A03E3
.long 0x7E8C03E7
.long 0x7E8E03EB
.long 0xBF800001
.long 0x0A606028
.long 0x0A626228
.long 0x0A646428
.long 0x0A666628
.long 0x0A686828
.long 0x0A6A6A28
.long 0x0A6C6C28
.long 0x0A6E6E28
.long 0x0A808028
.long 0x0A828228
.long 0x0A848428
.long 0x0A868628
.long 0x0A888828
.long 0x0A8A8A28
.long 0x0A8C8C28
.long 0x0A8E8E28
.long 0xBF8C0072
.long 0xD0CC0030, 0x0001003E
.long 0xD1000028, 0x00C250F2
	;; [unrolled: 1-line block ×28, first 2 shown]
.long 0xBEC41E3A
.long 0x7E600304
	;; [unrolled: 1-line block ×12, first 2 shown]
.long 0xE07C1000, 0x8003300D
.long 0xE07C1010, 0x8003340D
.long 0xBF8C0F71
.long 0xD0CC0030, 0x0001003E
.long 0xD1000028, 0x00C250F2
	;; [unrolled: 1-line block ×28, first 2 shown]
.long 0xBEC41E3A
.long 0x7E800304
	;; [unrolled: 1-line block ×12, first 2 shown]
.long 0xE07C1000, 0x8003400D
.long 0xE07C1010, 0x8003440D
.long 0xBF800000
.long 0xBF821820
.long 0x7E6602FF, 0x80000000
.long 0xD0C90046, 0x00002900
	;; [unrolled: 1-line block ×3, first 2 shown]
.long 0x86CA4A46
.long 0xD1FE000D, 0x020A0102
.long 0xD100000D, 0x012A1B33
	;; [unrolled: 1-line block ×6, first 2 shown]
.long 0x241C1C82
.long 0xD100000E, 0x012A1D33
.long 0xBF8CC07F
.long 0xBF8A0000
.long 0xD9FE0000, 0x1800000E
.long 0xD9FE0010, 0x1C00000E
.long 0x241E0082
.long 0xE05C1000, 0x800F200F
.long 0xE05C1010, 0x800F240F
	;; [unrolled: 1-line block ×9, first 2 shown]
.long 0x86CA4A46
.long 0xD1FE0030, 0x020A0102
.long 0xD1000030, 0x012A6133
.long 0xE05C1000, 0x80043830
.long 0xE05C1010, 0x80043C30
.long 0x924602FF, 0x00000100
.long 0xD1350031, 0x00008D00
.long 0x24626282
.long 0xD1000031, 0x012A6333
.long 0x24640082
.long 0xD1FE0030, 0x020A0103
.long 0xD1000030, 0x012A6133
	;; [unrolled: 1-line block ×18, first 2 shown]
.long 0xBF800001
.long 0x0A505028
	;; [unrolled: 1-line block ×18, first 2 shown]
.long 0xD0CC0030, 0x0001003E
.long 0xD1000020, 0x00C240F2
	;; [unrolled: 1-line block ×28, first 2 shown]
.long 0xBEC41E3A
.long 0x7E500304
	;; [unrolled: 1-line block ×9, first 2 shown]
.long 0xE07C1000, 0x8003280D
.long 0xE07C1010, 0x80032C0D
	;; [unrolled: 1-line block ×30, first 2 shown]
.long 0xBEC41E3A
.long 0x7E800304
	;; [unrolled: 1-line block ×9, first 2 shown]
.long 0xE07C1000, 0x80034030
.long 0xE07C1010, 0x80034430
.long 0xBF800000
.long 0x7E6602FF, 0x80000000
.long 0xD1196A01, 0x00010301
	;; [unrolled: 1-line block ×6, first 2 shown]
.long 0x86CA4A46
.long 0xD1FE000D, 0x020A0102
.long 0xD100000D, 0x012A1B33
	;; [unrolled: 1-line block ×6, first 2 shown]
.long 0x241C1C82
.long 0xD100000E, 0x012A1D33
.long 0xD9FE0000, 0x1800000E
.long 0xD9FE0010, 0x1C00000E
.long 0x241E0082
.long 0xE05C1000, 0x800F200F
.long 0xE05C1010, 0x800F240F
	;; [unrolled: 1-line block ×9, first 2 shown]
.long 0x86CA4A46
.long 0xD1FE0030, 0x020A0102
.long 0xD1000030, 0x012A6133
	;; [unrolled: 1-line block ×6, first 2 shown]
.long 0x24626282
.long 0xD1000031, 0x012A6333
.long 0x24640082
.long 0xD1FE0030, 0x020A0103
.long 0xD1000030, 0x012A6133
.long 0xD3D84028, 0x18000102
.long 0xD3D84029, 0x18000106
.long 0xD3D8402A, 0x1800010A
.long 0xD3D8402B, 0x1800010E
.long 0xD3D8402C, 0x18000112
.long 0xD3D8402D, 0x18000116
.long 0xD3D8402E, 0x1800011A
.long 0xD3D8402F, 0x1800011E
.long 0xD3D84040, 0x18000103
.long 0xD3D84041, 0x18000107
.long 0xD3D84042, 0x1800010B
.long 0xD3D84043, 0x1800010F
.long 0xD3D84044, 0x18000113
.long 0xD3D84045, 0x18000117
.long 0xD3D84046, 0x1800011B
.long 0xD3D84047, 0x1800011F
.long 0xBF800001
.long 0x0A505028
	;; [unrolled: 1-line block ×18, first 2 shown]
.long 0xD0CC0030, 0x0001003E
.long 0xD1000020, 0x00C240F2
	;; [unrolled: 1-line block ×28, first 2 shown]
.long 0xBEC41E3A
.long 0x7E500304
.long 0x7E520305
.long 0x7E540306
.long 0x7E560307
.long 0x7E580308
.long 0x7E5A0309
.long 0x7E5C030A
.long 0x7E5E030B
.long 0xE07C1000, 0x8003280D
.long 0xE07C1010, 0x80032C0D
	;; [unrolled: 1-line block ×30, first 2 shown]
.long 0xBEC41E3A
.long 0x7E800304
	;; [unrolled: 1-line block ×9, first 2 shown]
.long 0xE07C1000, 0x80034030
.long 0xE07C1010, 0x80034430
.long 0xBF800000
.long 0x7E6602FF, 0x80000000
.long 0xD1196A01, 0x00013B01
.long 0x92469D22
.long 0xD1340002, 0x00008D02
.long 0x92469D20
.long 0xD1340003, 0x00008D03
.long 0xD0C90046, 0x00002900
	;; [unrolled: 1-line block ×3, first 2 shown]
.long 0x86CA4A46
.long 0xD1FE000D, 0x020A0102
.long 0xD100000D, 0x012A1B33
	;; [unrolled: 1-line block ×6, first 2 shown]
.long 0x241C1C82
.long 0xD100000E, 0x012A1D33
.long 0xD9FE0000, 0x1800000E
	;; [unrolled: 1-line block ×3, first 2 shown]
.long 0x241E0082
.long 0xE05C1000, 0x800F200F
.long 0xE05C1010, 0x800F240F
	;; [unrolled: 1-line block ×9, first 2 shown]
.long 0x86CA4A46
.long 0xD1FE0030, 0x020A0102
.long 0xD1000030, 0x012A6133
	;; [unrolled: 1-line block ×6, first 2 shown]
.long 0x24626282
.long 0xD1000031, 0x012A6333
.long 0x24640082
.long 0xD1FE0030, 0x020A0103
.long 0xD1000030, 0x012A6133
	;; [unrolled: 1-line block ×18, first 2 shown]
.long 0xBF800001
.long 0x0A505028
	;; [unrolled: 1-line block ×18, first 2 shown]
.long 0xD0CC0030, 0x0001003E
.long 0xD1000020, 0x00C240F2
.long 0xD1000021, 0x00C242F2
.long 0xD3B14028, 0x18025120
.long 0xD0CC0030, 0x0001003E
.long 0xD1000022, 0x00C244F2
.long 0xD1000023, 0x00C246F2
.long 0xD3B1402A, 0x18025522
.long 0xD0CC0030, 0x0001003E
.long 0xD1000024, 0x00C248F2
.long 0xD1000025, 0x00C24AF2
.long 0xD3B1402C, 0x18025924
.long 0xD0CC0030, 0x0001003E
.long 0xD1000026, 0x00C24CF2
.long 0xD1000027, 0x00C24EF2
.long 0xD3B1402E, 0x18025D26
.long 0xD13B0028, 0x00005310
.long 0xD13B0029, 0x00005311
.long 0xD13B002A, 0x00005312
.long 0xD13B002B, 0x00005313
.long 0xD13B002C, 0x00005314
.long 0xD13B002D, 0x00005315
.long 0xD13B002E, 0x00005316
.long 0xD13B002F, 0x00005317
.long 0xD3B24004, 0x18025118
.long 0xD3B24006, 0x1802551A
.long 0xD3B24008, 0x1802591C
.long 0xD3B2400A, 0x18025D1E
.long 0xBEC41E3A
.long 0x7E500304
	;; [unrolled: 1-line block ×9, first 2 shown]
.long 0xE07C1000, 0x8003280D
.long 0xE07C1010, 0x80032C0D
	;; [unrolled: 1-line block ×30, first 2 shown]
.long 0xBEC41E3A
.long 0x7E800304
	;; [unrolled: 1-line block ×9, first 2 shown]
.long 0xE07C1000, 0x80034030
.long 0xE07C1010, 0x80034430
.long 0xBF800000
.long 0x7E6602FF, 0x80000000
.long 0xD1196A01, 0x00010301
	;; [unrolled: 1-line block ×6, first 2 shown]
.long 0x86CA4A46
.long 0xD1FE000D, 0x020A0102
.long 0xD100000D, 0x012A1B33
	;; [unrolled: 1-line block ×6, first 2 shown]
.long 0x241C1C82
.long 0xD100000E, 0x012A1D33
.long 0xD9FE0000, 0x1800000E
	;; [unrolled: 1-line block ×3, first 2 shown]
.long 0x241E0082
.long 0xE05C1000, 0x800F200F
.long 0xE05C1010, 0x800F240F
	;; [unrolled: 1-line block ×9, first 2 shown]
.long 0x86CA4A46
.long 0xD1FE0030, 0x020A0102
.long 0xD1000030, 0x012A6133
	;; [unrolled: 1-line block ×6, first 2 shown]
.long 0x24626282
.long 0xD1000031, 0x012A6333
.long 0x24640082
.long 0xD1FE0030, 0x020A0103
.long 0xD1000030, 0x012A6133
	;; [unrolled: 1-line block ×18, first 2 shown]
.long 0xBF800001
.long 0x0A505028
	;; [unrolled: 1-line block ×18, first 2 shown]
.long 0xD0CC0030, 0x0001003E
.long 0xD1000020, 0x00C240F2
.long 0xD1000021, 0x00C242F2
.long 0xD3B14028, 0x18025120
.long 0xD0CC0030, 0x0001003E
.long 0xD1000022, 0x00C244F2
.long 0xD1000023, 0x00C246F2
.long 0xD3B1402A, 0x18025522
.long 0xD0CC0030, 0x0001003E
.long 0xD1000024, 0x00C248F2
.long 0xD1000025, 0x00C24AF2
.long 0xD3B1402C, 0x18025924
.long 0xD0CC0030, 0x0001003E
.long 0xD1000026, 0x00C24CF2
.long 0xD1000027, 0x00C24EF2
.long 0xD3B1402E, 0x18025D26
.long 0xD13B0028, 0x00005310
.long 0xD13B0029, 0x00005311
.long 0xD13B002A, 0x00005312
.long 0xD13B002B, 0x00005313
.long 0xD13B002C, 0x00005314
.long 0xD13B002D, 0x00005315
.long 0xD13B002E, 0x00005316
.long 0xD13B002F, 0x00005317
.long 0xD3B24004, 0x18025118
.long 0xD3B24006, 0x1802551A
.long 0xD3B24008, 0x1802591C
.long 0xD3B2400A, 0x18025D1E
.long 0xBEC41E3A
.long 0x7E500304
	;; [unrolled: 1-line block ×9, first 2 shown]
.long 0xE07C1000, 0x8003280D
.long 0xE07C1010, 0x80032C0D
	;; [unrolled: 1-line block ×30, first 2 shown]
.long 0xBEC41E3A
.long 0x7E800304
	;; [unrolled: 1-line block ×9, first 2 shown]
.long 0xE07C1000, 0x80034030
.long 0xE07C1010, 0x80034430
.long 0xBF800000
.long 0x7E6602FF, 0x80000000
.long 0xD1196A01, 0x00013B01
.long 0x92469D22
.long 0xD1340002, 0x00008D02
.long 0x92469D20
.long 0xD1340003, 0x00008D03
.long 0xD0C90046, 0x00002900
	;; [unrolled: 1-line block ×3, first 2 shown]
.long 0x86CA4A46
.long 0xD1FE000D, 0x020A0102
.long 0xD100000D, 0x012A1B33
	;; [unrolled: 1-line block ×6, first 2 shown]
.long 0x241C1C82
.long 0xD100000E, 0x012A1D33
.long 0xD9FE0000, 0x1800000E
	;; [unrolled: 1-line block ×3, first 2 shown]
.long 0x241E0082
.long 0xE05C1000, 0x800F200F
.long 0xE05C1010, 0x800F240F
	;; [unrolled: 1-line block ×9, first 2 shown]
.long 0x86CA4A46
.long 0xD1FE0030, 0x020A0102
.long 0xD1000030, 0x012A6133
.long 0xE05C1000, 0x80043830
.long 0xE05C1010, 0x80043C30
.long 0x924602FF, 0x00000100
.long 0xD1350031, 0x00008D00
.long 0x24626282
.long 0xD1000031, 0x012A6333
.long 0x24640082
.long 0xD1FE0030, 0x020A0103
.long 0xD1000030, 0x012A6133
	;; [unrolled: 1-line block ×18, first 2 shown]
.long 0xBF800001
.long 0x0A505028
	;; [unrolled: 1-line block ×18, first 2 shown]
.long 0xD0CC0030, 0x0001003E
.long 0xD1000020, 0x00C240F2
	;; [unrolled: 1-line block ×28, first 2 shown]
.long 0xBEC41E3A
.long 0x7E500304
.long 0x7E520305
.long 0x7E540306
.long 0x7E560307
.long 0x7E580308
.long 0x7E5A0309
.long 0x7E5C030A
.long 0x7E5E030B
.long 0xE07C1000, 0x8003280D
.long 0xE07C1010, 0x80032C0D
	;; [unrolled: 1-line block ×30, first 2 shown]
.long 0xBEC41E3A
.long 0x7E800304
	;; [unrolled: 1-line block ×9, first 2 shown]
.long 0xE07C1000, 0x80034030
.long 0xE07C1010, 0x80034430
.long 0xBF800000
.long 0x7E6602FF, 0x80000000
.long 0xD1196A01, 0x00010301
	;; [unrolled: 1-line block ×6, first 2 shown]
.long 0x86CA4A46
.long 0xD1FE000D, 0x020A0102
.long 0xD100000D, 0x012A1B33
	;; [unrolled: 1-line block ×6, first 2 shown]
.long 0x241C1C82
.long 0xD100000E, 0x012A1D33
.long 0xD9FE0000, 0x1800000E
	;; [unrolled: 1-line block ×3, first 2 shown]
.long 0x241E0082
.long 0xE05C1000, 0x800F200F
.long 0xE05C1010, 0x800F240F
	;; [unrolled: 1-line block ×9, first 2 shown]
.long 0x86CA4A46
.long 0xD1FE0030, 0x020A0102
.long 0xD1000030, 0x012A6133
	;; [unrolled: 1-line block ×6, first 2 shown]
.long 0x24626282
.long 0xD1000031, 0x012A6333
.long 0x24640082
.long 0xD1FE0030, 0x020A0103
.long 0xD1000030, 0x012A6133
	;; [unrolled: 1-line block ×18, first 2 shown]
.long 0xBF800001
.long 0x0A505028
	;; [unrolled: 1-line block ×18, first 2 shown]
.long 0xD0CC0030, 0x0001003E
.long 0xD1000020, 0x00C240F2
	;; [unrolled: 1-line block ×28, first 2 shown]
.long 0xBEC41E3A
.long 0x7E500304
	;; [unrolled: 1-line block ×9, first 2 shown]
.long 0xE07C1000, 0x8003280D
.long 0xE07C1010, 0x80032C0D
	;; [unrolled: 1-line block ×30, first 2 shown]
.long 0xBEC41E3A
.long 0x7E800304
	;; [unrolled: 1-line block ×9, first 2 shown]
.long 0xE07C1000, 0x80034030
.long 0xE07C1010, 0x80034430
.long 0xBF800000
.long 0x7E6602FF, 0x80000000
.long 0xD1196A01, 0x00013B01
.long 0x92469D22
.long 0xD1340002, 0x00008D02
.long 0x92469D20
.long 0xD1340003, 0x00008D03
.long 0xD0C90046, 0x00002900
	;; [unrolled: 1-line block ×3, first 2 shown]
.long 0x86CA4A46
.long 0xD1FE000D, 0x020A0102
.long 0xD100000D, 0x012A1B33
	;; [unrolled: 1-line block ×6, first 2 shown]
.long 0x241C1C82
.long 0xD100000E, 0x012A1D33
.long 0xD9FE0000, 0x1800000E
	;; [unrolled: 1-line block ×3, first 2 shown]
.long 0x241E0082
.long 0xE05C1000, 0x800F200F
.long 0xE05C1010, 0x800F240F
.long 0xD1FE000D, 0x020A0103
.long 0xD100000D, 0x012A1B33
.long 0xD1196A01, 0x00010301
.long 0xD1340002, 0x00004502
.long 0xD1340003, 0x00004103
.long 0xD0C90046, 0x00002900
.long 0xD0C9004A, 0x00002B01
.long 0x86CA4A46
.long 0xD1FE0030, 0x020A0102
.long 0xD1000030, 0x012A6133
	;; [unrolled: 1-line block ×6, first 2 shown]
.long 0x24626282
.long 0xD1000031, 0x012A6333
.long 0x24640082
.long 0xD1FE0030, 0x020A0103
.long 0xD1000030, 0x012A6133
	;; [unrolled: 1-line block ×18, first 2 shown]
.long 0xBF800001
.long 0x0A505028
.long 0x0A525228
.long 0x0A545428
.long 0x0A565628
.long 0x0A585828
.long 0x0A5A5A28
.long 0x0A5C5C28
.long 0x0A5E5E28
.long 0x0A808028
.long 0x0A828228
.long 0x0A848428
.long 0x0A868628
.long 0x0A888828
.long 0x0A8A8A28
.long 0x0A8C8C28
.long 0x0A8E8E28
.long 0xBF8C0000
.long 0xD0CC0030, 0x0001003E
.long 0xD1000020, 0x00C240F2
	;; [unrolled: 1-line block ×28, first 2 shown]
.long 0xBEC41E3A
.long 0x7E500304
	;; [unrolled: 1-line block ×9, first 2 shown]
.long 0xE07C1000, 0x8003280D
.long 0xE07C1010, 0x80032C0D
	;; [unrolled: 1-line block ×30, first 2 shown]
.long 0xBEC41E3A
.long 0x7E800304
	;; [unrolled: 1-line block ×9, first 2 shown]
.long 0xE07C1000, 0x80034030
.long 0xE07C1010, 0x80034430
.long 0xBF800000
.long 0x7E6602FF, 0x80000000
.long 0xD1196A01, 0x00010301
	;; [unrolled: 1-line block ×6, first 2 shown]
.long 0x86CA4A46
.long 0xD1FE000D, 0x020A0102
.long 0xD100000D, 0x012A1B33
	;; [unrolled: 1-line block ×6, first 2 shown]
.long 0x241C1C82
.long 0xD100000E, 0x012A1D33
.long 0xD9FE0000, 0x1800000E
	;; [unrolled: 1-line block ×3, first 2 shown]
.long 0x241E0082
.long 0xE05C1000, 0x800F200F
.long 0xE05C1010, 0x800F240F
	;; [unrolled: 1-line block ×9, first 2 shown]
.long 0x86CA4A46
.long 0xD1FE0030, 0x020A0102
.long 0xD1000030, 0x012A6133
	;; [unrolled: 1-line block ×6, first 2 shown]
.long 0x24626282
.long 0xD1000031, 0x012A6333
.long 0x24640082
.long 0xD1FE0030, 0x020A0103
.long 0xD1000030, 0x012A6133
	;; [unrolled: 1-line block ×18, first 2 shown]
.long 0xBF800001
.long 0x0A505028
	;; [unrolled: 1-line block ×18, first 2 shown]
.long 0xD0CC0030, 0x0001003E
.long 0xD1000020, 0x00C240F2
	;; [unrolled: 1-line block ×28, first 2 shown]
.long 0xBEC41E3A
.long 0x7E500304
	;; [unrolled: 1-line block ×9, first 2 shown]
.long 0xE07C1000, 0x8003280D
.long 0xE07C1010, 0x80032C0D
	;; [unrolled: 1-line block ×30, first 2 shown]
.long 0xBEC41E3A
.long 0x7E800304
.long 0x7E820305
.long 0x7E840306
.long 0x7E860307
.long 0x7E880308
.long 0x7E8A0309
.long 0x7E8C030A
.long 0x7E8E030B
.long 0xE07C1000, 0x80034030
.long 0xE07C1010, 0x80034430
.long 0xBF800000
.long 0x7E6602FF, 0x80000000
.long 0xD1196A01, 0x00013B01
.long 0x92469D22
.long 0xD1340002, 0x00008D02
.long 0x92469D20
.long 0xD1340003, 0x00008D03
.long 0xD0C90046, 0x00002900
	;; [unrolled: 1-line block ×3, first 2 shown]
.long 0x86CA4A46
.long 0xD1FE000D, 0x020A0102
.long 0xD100000D, 0x012A1B33
	;; [unrolled: 1-line block ×6, first 2 shown]
.long 0x241C1C82
.long 0xD100000E, 0x012A1D33
.long 0xD9FE0000, 0x1800000E
	;; [unrolled: 1-line block ×3, first 2 shown]
.long 0x241E0082
.long 0xE05C1000, 0x800F200F
.long 0xE05C1010, 0x800F240F
	;; [unrolled: 1-line block ×9, first 2 shown]
.long 0x86CA4A46
.long 0xD1FE0030, 0x020A0102
.long 0xD1000030, 0x012A6133
	;; [unrolled: 1-line block ×6, first 2 shown]
.long 0x24626282
.long 0xD1000031, 0x012A6333
.long 0x24640082
.long 0xD1FE0030, 0x020A0103
.long 0xD1000030, 0x012A6133
	;; [unrolled: 1-line block ×18, first 2 shown]
.long 0xBF800001
.long 0x0A505028
	;; [unrolled: 1-line block ×18, first 2 shown]
.long 0xD0CC0030, 0x0001003E
.long 0xD1000020, 0x00C240F2
	;; [unrolled: 1-line block ×28, first 2 shown]
.long 0xBEC41E3A
.long 0x7E500304
	;; [unrolled: 1-line block ×9, first 2 shown]
.long 0xE07C1000, 0x8003280D
.long 0xE07C1010, 0x80032C0D
	;; [unrolled: 1-line block ×30, first 2 shown]
.long 0xBEC41E3A
.long 0x7E800304
	;; [unrolled: 1-line block ×9, first 2 shown]
.long 0xE07C1000, 0x80034030
.long 0xE07C1010, 0x80034430
.long 0xBF800000
.long 0x7E6602FF, 0x80000000
.long 0xD1196A01, 0x00010301
	;; [unrolled: 1-line block ×6, first 2 shown]
.long 0x86CA4A46
.long 0xD1FE000D, 0x020A0102
.long 0xD100000D, 0x012A1B33
	;; [unrolled: 1-line block ×6, first 2 shown]
.long 0x241C1C82
.long 0xD100000E, 0x012A1D33
.long 0xD9FE0000, 0x1800000E
	;; [unrolled: 1-line block ×3, first 2 shown]
.long 0x241E0082
.long 0xE05C1000, 0x800F200F
.long 0xE05C1010, 0x800F240F
	;; [unrolled: 1-line block ×9, first 2 shown]
.long 0x86CA4A46
.long 0xD1FE0030, 0x020A0102
.long 0xD1000030, 0x012A6133
.long 0xE05C1000, 0x80043830
.long 0xE05C1010, 0x80043C30
.long 0x924602FF, 0x00000100
.long 0xD1350031, 0x00008D00
.long 0x24626282
.long 0xD1000031, 0x012A6333
.long 0x24640082
.long 0xD1FE0030, 0x020A0103
.long 0xD1000030, 0x012A6133
.long 0xD3D84028, 0x18000182
.long 0xD3D84029, 0x18000186
.long 0xD3D8402A, 0x1800018A
.long 0xD3D8402B, 0x1800018E
.long 0xD3D8402C, 0x18000192
.long 0xD3D8402D, 0x18000196
.long 0xD3D8402E, 0x1800019A
.long 0xD3D8402F, 0x1800019E
.long 0xD3D84040, 0x18000183
.long 0xD3D84041, 0x18000187
.long 0xD3D84042, 0x1800018B
.long 0xD3D84043, 0x1800018F
.long 0xD3D84044, 0x18000193
.long 0xD3D84045, 0x18000197
.long 0xD3D84046, 0x1800019B
.long 0xD3D84047, 0x1800019F
.long 0xBF800001
.long 0x0A505028
	;; [unrolled: 1-line block ×18, first 2 shown]
.long 0xD0CC0030, 0x0001003E
.long 0xD1000020, 0x00C240F2
	;; [unrolled: 1-line block ×28, first 2 shown]
.long 0xBEC41E3A
.long 0x7E500304
	;; [unrolled: 1-line block ×9, first 2 shown]
.long 0xE07C1000, 0x8003280D
.long 0xE07C1010, 0x80032C0D
.long 0xD0CC0030, 0x0001003E
.long 0xD1000020, 0x00C240F2
.long 0xD1000021, 0x00C242F2
.long 0xD3B14040, 0x18028120
.long 0xD0CC0030, 0x0001003E
.long 0xD1000022, 0x00C244F2
.long 0xD1000023, 0x00C246F2
.long 0xD3B14042, 0x18028522
.long 0xD0CC0030, 0x0001003E
.long 0xD1000024, 0x00C248F2
.long 0xD1000025, 0x00C24AF2
.long 0xD3B14044, 0x18028924
.long 0xD0CC0030, 0x0001003E
.long 0xD1000026, 0x00C24CF2
.long 0xD1000027, 0x00C24EF2
.long 0xD3B14046, 0x18028D26
.long 0xD13B0040, 0x00005338
.long 0xD13B0041, 0x00005339
.long 0xD13B0042, 0x0000533A
.long 0xD13B0043, 0x0000533B
.long 0xD13B0044, 0x0000533C
.long 0xD13B0045, 0x0000533D
.long 0xD13B0046, 0x0000533E
.long 0xD13B0047, 0x0000533F
.long 0xD3B24004, 0x18028118
.long 0xD3B24006, 0x1802851A
.long 0xD3B24008, 0x1802891C
.long 0xD3B2400A, 0x18028D1E
.long 0xBEC41E3A
.long 0x7E800304
	;; [unrolled: 1-line block ×9, first 2 shown]
.long 0xE07C1000, 0x80034030
.long 0xE07C1010, 0x80034430
.long 0xBF800000
.long 0x7E6602FF, 0x80000000
.long 0xD1196A01, 0x00013B01
.long 0x92469D22
.long 0xD1340002, 0x00008D02
.long 0x92469D20
.long 0xD1340003, 0x00008D03
.long 0xD0C90046, 0x00002900
.long 0xD0C9004A, 0x00002B01
.long 0x86CA4A46
.long 0xD1FE000D, 0x020A0102
.long 0xD100000D, 0x012A1B33
	;; [unrolled: 1-line block ×6, first 2 shown]
.long 0x241C1C82
.long 0xD100000E, 0x012A1D33
.long 0xD9FE0000, 0x1800000E
	;; [unrolled: 1-line block ×3, first 2 shown]
.long 0x241E0082
.long 0xE05C1000, 0x800F200F
.long 0xE05C1010, 0x800F240F
	;; [unrolled: 1-line block ×9, first 2 shown]
.long 0x86CA4A46
.long 0xD1FE0030, 0x020A0102
.long 0xD1000030, 0x012A6133
	;; [unrolled: 1-line block ×6, first 2 shown]
.long 0x24626282
.long 0xD1000031, 0x012A6333
.long 0x24640082
.long 0xD1FE0030, 0x020A0103
.long 0xD1000030, 0x012A6133
	;; [unrolled: 1-line block ×18, first 2 shown]
.long 0xBF800001
.long 0x0A505028
	;; [unrolled: 1-line block ×18, first 2 shown]
.long 0xD0CC0030, 0x0001003E
.long 0xD1000020, 0x00C240F2
	;; [unrolled: 1-line block ×28, first 2 shown]
.long 0xBEC41E3A
.long 0x7E500304
	;; [unrolled: 1-line block ×9, first 2 shown]
.long 0xE07C1000, 0x8003280D
.long 0xE07C1010, 0x80032C0D
	;; [unrolled: 1-line block ×30, first 2 shown]
.long 0xBEC41E3A
.long 0x7E800304
	;; [unrolled: 1-line block ×9, first 2 shown]
.long 0xE07C1000, 0x80034030
.long 0xE07C1010, 0x80034430
.long 0xBF800000
.long 0x7E6602FF, 0x80000000
.long 0xD1196A01, 0x00010301
.long 0xD1340002, 0x00004502
.long 0xD1340003, 0x00004103
.long 0xD0C90046, 0x00002900
.long 0xD0C9004A, 0x00002B01
.long 0x86CA4A46
.long 0xD1FE000D, 0x020A0102
.long 0xD100000D, 0x012A1B33
	;; [unrolled: 1-line block ×6, first 2 shown]
.long 0x241C1C82
.long 0xD100000E, 0x012A1D33
.long 0xD9FE0000, 0x1800000E
	;; [unrolled: 1-line block ×3, first 2 shown]
.long 0x241E0082
.long 0xE05C1000, 0x800F200F
.long 0xE05C1010, 0x800F240F
	;; [unrolled: 1-line block ×9, first 2 shown]
.long 0x86CA4A46
.long 0xD1FE0030, 0x020A0102
.long 0xD1000030, 0x012A6133
	;; [unrolled: 1-line block ×6, first 2 shown]
.long 0x24626282
.long 0xD1000031, 0x012A6333
.long 0x24640082
.long 0xD1FE0030, 0x020A0103
.long 0xD1000030, 0x012A6133
	;; [unrolled: 1-line block ×18, first 2 shown]
.long 0xBF800001
.long 0x0A505028
	;; [unrolled: 1-line block ×18, first 2 shown]
.long 0xD0CC0030, 0x0001003E
.long 0xD1000020, 0x00C240F2
.long 0xD1000021, 0x00C242F2
.long 0xD3B14028, 0x18025120
.long 0xD0CC0030, 0x0001003E
.long 0xD1000022, 0x00C244F2
.long 0xD1000023, 0x00C246F2
.long 0xD3B1402A, 0x18025522
.long 0xD0CC0030, 0x0001003E
.long 0xD1000024, 0x00C248F2
.long 0xD1000025, 0x00C24AF2
.long 0xD3B1402C, 0x18025924
.long 0xD0CC0030, 0x0001003E
.long 0xD1000026, 0x00C24CF2
.long 0xD1000027, 0x00C24EF2
.long 0xD3B1402E, 0x18025D26
.long 0xD13B0028, 0x00005310
.long 0xD13B0029, 0x00005311
.long 0xD13B002A, 0x00005312
.long 0xD13B002B, 0x00005313
.long 0xD13B002C, 0x00005314
.long 0xD13B002D, 0x00005315
.long 0xD13B002E, 0x00005316
.long 0xD13B002F, 0x00005317
.long 0xD3B24004, 0x18025118
.long 0xD3B24006, 0x1802551A
.long 0xD3B24008, 0x1802591C
.long 0xD3B2400A, 0x18025D1E
.long 0xBEC41E3A
.long 0x7E500304
	;; [unrolled: 1-line block ×9, first 2 shown]
.long 0xE07C1000, 0x8003280D
.long 0xE07C1010, 0x80032C0D
	;; [unrolled: 1-line block ×30, first 2 shown]
.long 0xBEC41E3A
.long 0x7E800304
	;; [unrolled: 1-line block ×9, first 2 shown]
.long 0xE07C1000, 0x80034030
.long 0xE07C1010, 0x80034430
.long 0xBF800000
.long 0x7E6602FF, 0x80000000
.long 0xD1196A01, 0x00013B01
.long 0x92469D22
.long 0xD1340002, 0x00008D02
.long 0x92469D20
.long 0xD1340003, 0x00008D03
.long 0xD0C90046, 0x00002900
	;; [unrolled: 1-line block ×3, first 2 shown]
.long 0x86CA4A46
.long 0xD1FE000D, 0x020A0102
.long 0xD100000D, 0x012A1B33
	;; [unrolled: 1-line block ×6, first 2 shown]
.long 0x241C1C82
.long 0xD100000E, 0x012A1D33
.long 0xD9FE0000, 0x1800000E
	;; [unrolled: 1-line block ×3, first 2 shown]
.long 0x241E0082
.long 0xE05C1000, 0x800F200F
.long 0xE05C1010, 0x800F240F
	;; [unrolled: 1-line block ×9, first 2 shown]
.long 0x86CA4A46
.long 0xD1FE0030, 0x020A0102
.long 0xD1000030, 0x012A6133
	;; [unrolled: 1-line block ×6, first 2 shown]
.long 0x24626282
.long 0xD1000031, 0x012A6333
.long 0x24640082
.long 0xD1FE0030, 0x020A0103
.long 0xD1000030, 0x012A6133
	;; [unrolled: 1-line block ×18, first 2 shown]
.long 0xBF800001
.long 0x0A505028
	;; [unrolled: 1-line block ×18, first 2 shown]
.long 0xD0CC0030, 0x0001003E
.long 0xD1000020, 0x00C240F2
	;; [unrolled: 1-line block ×28, first 2 shown]
.long 0xBEC41E3A
.long 0x7E500304
.long 0x7E520305
.long 0x7E540306
.long 0x7E560307
.long 0x7E580308
.long 0x7E5A0309
.long 0x7E5C030A
.long 0x7E5E030B
.long 0xE07C1000, 0x8003280D
.long 0xE07C1010, 0x80032C0D
	;; [unrolled: 1-line block ×30, first 2 shown]
.long 0xBEC41E3A
.long 0x7E800304
	;; [unrolled: 1-line block ×9, first 2 shown]
.long 0xE07C1000, 0x80034030
.long 0xE07C1010, 0x80034430
.long 0xBF800000
.long 0x7E6602FF, 0x80000000
.long 0xD1196A01, 0x00010301
	;; [unrolled: 1-line block ×6, first 2 shown]
.long 0x86CA4A46
.long 0xD1FE000D, 0x020A0102
.long 0xD100000D, 0x012A1B33
	;; [unrolled: 1-line block ×6, first 2 shown]
.long 0x241C1C82
.long 0xD100000E, 0x012A1D33
.long 0xD9FE0000, 0x1800000E
	;; [unrolled: 1-line block ×3, first 2 shown]
.long 0x241E0082
.long 0xE05C1000, 0x800F200F
.long 0xE05C1010, 0x800F240F
	;; [unrolled: 1-line block ×9, first 2 shown]
.long 0x86CA4A46
.long 0xD1FE0030, 0x020A0102
.long 0xD1000030, 0x012A6133
	;; [unrolled: 1-line block ×6, first 2 shown]
.long 0x24626282
.long 0xD1000031, 0x012A6333
.long 0x24640082
.long 0xD1FE0030, 0x020A0103
.long 0xD1000030, 0x012A6133
	;; [unrolled: 1-line block ×18, first 2 shown]
.long 0xBF800001
.long 0x0A505028
	;; [unrolled: 1-line block ×18, first 2 shown]
.long 0xD0CC0030, 0x0001003E
.long 0xD1000020, 0x00C240F2
	;; [unrolled: 1-line block ×28, first 2 shown]
.long 0xBEC41E3A
.long 0x7E500304
	;; [unrolled: 1-line block ×9, first 2 shown]
.long 0xE07C1000, 0x8003280D
.long 0xE07C1010, 0x80032C0D
	;; [unrolled: 1-line block ×30, first 2 shown]
.long 0xBEC41E3A
.long 0x7E800304
	;; [unrolled: 1-line block ×9, first 2 shown]
.long 0xE07C1000, 0x80034030
.long 0xE07C1010, 0x80034430
.long 0xBF800000
.long 0x7E6602FF, 0x80000000
.long 0xD1196A01, 0x00013B01
.long 0x92469D22
.long 0xD1340002, 0x00008D02
.long 0x92469D20
.long 0xD1340003, 0x00008D03
.long 0xD0C90046, 0x00002900
	;; [unrolled: 1-line block ×3, first 2 shown]
.long 0x86CA4A46
.long 0xD1FE000D, 0x020A0102
.long 0xD100000D, 0x012A1B33
	;; [unrolled: 1-line block ×6, first 2 shown]
.long 0x241C1C82
.long 0xD100000E, 0x012A1D33
.long 0xD9FE0000, 0x1800000E
	;; [unrolled: 1-line block ×3, first 2 shown]
.long 0x241E0082
.long 0xE05C1000, 0x800F200F
.long 0xE05C1010, 0x800F240F
	;; [unrolled: 1-line block ×9, first 2 shown]
.long 0x86CA4A46
.long 0xD1FE0030, 0x020A0102
.long 0xD1000030, 0x012A6133
	;; [unrolled: 1-line block ×6, first 2 shown]
.long 0x24626282
.long 0xD1000031, 0x012A6333
.long 0x24640082
.long 0xD1FE0030, 0x020A0103
.long 0xD1000030, 0x012A6133
	;; [unrolled: 1-line block ×18, first 2 shown]
.long 0xBF800001
.long 0x0A505028
	;; [unrolled: 1-line block ×18, first 2 shown]
.long 0xD0CC0030, 0x0001003E
.long 0xD1000020, 0x00C240F2
	;; [unrolled: 1-line block ×28, first 2 shown]
.long 0xBEC41E3A
.long 0x7E500304
.long 0x7E520305
.long 0x7E540306
.long 0x7E560307
.long 0x7E580308
.long 0x7E5A0309
.long 0x7E5C030A
.long 0x7E5E030B
.long 0xE07C1000, 0x8003280D
.long 0xE07C1010, 0x80032C0D
	;; [unrolled: 1-line block ×30, first 2 shown]
.long 0xBEC41E3A
.long 0x7E800304
.long 0x7E820305
.long 0x7E840306
.long 0x7E860307
.long 0x7E880308
.long 0x7E8A0309
.long 0x7E8C030A
.long 0x7E8E030B
.long 0xE07C1000, 0x80034030
.long 0xE07C1010, 0x80034430
.long 0xBF800000
.long 0x7E6602FF, 0x80000000
.long 0xD1196A01, 0x00010301
	;; [unrolled: 1-line block ×6, first 2 shown]
.long 0x86CA4A46
.long 0xD1FE000D, 0x020A0102
.long 0xD100000D, 0x012A1B33
	;; [unrolled: 1-line block ×6, first 2 shown]
.long 0x241C1C82
.long 0xD100000E, 0x012A1D33
.long 0xD9FE0000, 0x1800000E
	;; [unrolled: 1-line block ×3, first 2 shown]
.long 0x241E0082
.long 0xE05C1000, 0x800F200F
.long 0xE05C1010, 0x800F240F
	;; [unrolled: 1-line block ×9, first 2 shown]
.long 0x86CA4A46
.long 0xD1FE0030, 0x020A0102
.long 0xD1000030, 0x012A6133
	;; [unrolled: 1-line block ×6, first 2 shown]
.long 0x24626282
.long 0xD1000031, 0x012A6333
.long 0x24640082
.long 0xD1FE0030, 0x020A0103
.long 0xD1000030, 0x012A6133
	;; [unrolled: 1-line block ×18, first 2 shown]
.long 0xBF800001
.long 0x0A505028
.long 0x0A525228
.long 0x0A545428
.long 0x0A565628
.long 0x0A585828
.long 0x0A5A5A28
.long 0x0A5C5C28
.long 0x0A5E5E28
.long 0x0A808028
.long 0x0A828228
.long 0x0A848428
.long 0x0A868628
.long 0x0A888828
.long 0x0A8A8A28
.long 0x0A8C8C28
.long 0x0A8E8E28
.long 0xBF8C0000
.long 0xD0CC0030, 0x0001003E
.long 0xD1000020, 0x00C240F2
	;; [unrolled: 1-line block ×28, first 2 shown]
.long 0xBEC41E3A
.long 0x7E500304
	;; [unrolled: 1-line block ×9, first 2 shown]
.long 0xE07C1000, 0x8003280D
.long 0xE07C1010, 0x80032C0D
	;; [unrolled: 1-line block ×30, first 2 shown]
.long 0xBEC41E3A
.long 0x7E800304
	;; [unrolled: 1-line block ×9, first 2 shown]
.long 0xE07C1000, 0x80034030
.long 0xE07C1010, 0x80034430
.long 0xBF800000
.long 0x7E6602FF, 0x80000000
.long 0xD1196A01, 0x00013B01
.long 0x92469D22
.long 0xD1340002, 0x00008D02
.long 0x92469D20
.long 0xD1340003, 0x00008D03
.long 0xD0C90046, 0x00002900
	;; [unrolled: 1-line block ×3, first 2 shown]
.long 0x86CA4A46
.long 0xD1FE000D, 0x020A0102
.long 0xD100000D, 0x012A1B33
	;; [unrolled: 1-line block ×6, first 2 shown]
.long 0x241C1C82
.long 0xD100000E, 0x012A1D33
.long 0xD9FE0000, 0x1800000E
	;; [unrolled: 1-line block ×3, first 2 shown]
.long 0x241E0082
.long 0xE05C1000, 0x800F200F
.long 0xE05C1010, 0x800F240F
	;; [unrolled: 1-line block ×9, first 2 shown]
.long 0x86CA4A46
.long 0xD1FE0030, 0x020A0102
.long 0xD1000030, 0x012A6133
	;; [unrolled: 1-line block ×6, first 2 shown]
.long 0x24626282
.long 0xD1000031, 0x012A6333
.long 0x24640082
.long 0xD1FE0030, 0x020A0103
.long 0xD1000030, 0x012A6133
.long 0x7E50038C
.long 0x7E520390
	;; [unrolled: 1-line block ×34, first 2 shown]
.long 0xD0CC0030, 0x0001003E
.long 0xD1000020, 0x00C240F2
	;; [unrolled: 1-line block ×28, first 2 shown]
.long 0xBEC41E3A
.long 0x7E500304
	;; [unrolled: 1-line block ×9, first 2 shown]
.long 0xE07C1000, 0x8003280D
.long 0xE07C1010, 0x80032C0D
	;; [unrolled: 1-line block ×30, first 2 shown]
.long 0xBEC41E3A
.long 0x7E800304
	;; [unrolled: 1-line block ×9, first 2 shown]
.long 0xE07C1000, 0x80034030
.long 0xE07C1010, 0x80034430
.long 0xBF800000
.long 0x7E6602FF, 0x80000000
.long 0xD1196A01, 0x00010301
	;; [unrolled: 1-line block ×6, first 2 shown]
.long 0x86CA4A46
.long 0xD1FE000D, 0x020A0102
.long 0xD100000D, 0x012A1B33
	;; [unrolled: 1-line block ×6, first 2 shown]
.long 0x241C1C82
.long 0xD100000E, 0x012A1D33
.long 0xD9FE0000, 0x1800000E
	;; [unrolled: 1-line block ×3, first 2 shown]
.long 0x241E0082
.long 0xE05C1000, 0x800F200F
.long 0xE05C1010, 0x800F240F
	;; [unrolled: 1-line block ×9, first 2 shown]
.long 0x86CA4A46
.long 0xD1FE0030, 0x020A0102
.long 0xD1000030, 0x012A6133
	;; [unrolled: 1-line block ×6, first 2 shown]
.long 0x24626282
.long 0xD1000031, 0x012A6333
.long 0x24640082
.long 0xD1FE0030, 0x020A0103
.long 0xD1000030, 0x012A6133
.long 0x7E50038E
.long 0x7E520392
	;; [unrolled: 1-line block ×34, first 2 shown]
.long 0xD0CC0030, 0x0001003E
.long 0xD1000020, 0x00C240F2
	;; [unrolled: 1-line block ×28, first 2 shown]
.long 0xBEC41E3A
.long 0x7E500304
	;; [unrolled: 1-line block ×9, first 2 shown]
.long 0xE07C1000, 0x8003280D
.long 0xE07C1010, 0x80032C0D
	;; [unrolled: 1-line block ×30, first 2 shown]
.long 0xBEC41E3A
.long 0x7E800304
	;; [unrolled: 1-line block ×9, first 2 shown]
.long 0xE07C1000, 0x80034030
.long 0xE07C1010, 0x80034430
.long 0xBF800000
.long 0x7E6602FF, 0x80000000
.long 0xD1196A01, 0x00013B01
.long 0x92469D22
.long 0xD1340002, 0x00008D02
.long 0x92469D20
.long 0xD1340003, 0x00008D03
.long 0xD0C90046, 0x00002900
	;; [unrolled: 1-line block ×3, first 2 shown]
.long 0x86CA4A46
.long 0xD1FE000D, 0x020A0102
.long 0xD100000D, 0x012A1B33
	;; [unrolled: 1-line block ×6, first 2 shown]
.long 0x241C1C82
.long 0xD100000E, 0x012A1D33
.long 0xD9FE0000, 0x1800000E
	;; [unrolled: 1-line block ×3, first 2 shown]
.long 0x241E0082
.long 0xE05C1000, 0x800F200F
.long 0xE05C1010, 0x800F240F
	;; [unrolled: 1-line block ×9, first 2 shown]
.long 0x86CA4A46
.long 0xD1FE0030, 0x020A0102
.long 0xD1000030, 0x012A6133
	;; [unrolled: 1-line block ×6, first 2 shown]
.long 0x24626282
.long 0xD1000031, 0x012A6333
.long 0x24640082
.long 0xD1FE0030, 0x020A0103
.long 0xD1000030, 0x012A6133
.long 0x7E5003AC
.long 0x7E5203B0
	;; [unrolled: 1-line block ×34, first 2 shown]
.long 0xD0CC0030, 0x0001003E
.long 0xD1000020, 0x00C240F2
	;; [unrolled: 1-line block ×28, first 2 shown]
.long 0xBEC41E3A
.long 0x7E500304
.long 0x7E520305
.long 0x7E540306
.long 0x7E560307
.long 0x7E580308
.long 0x7E5A0309
.long 0x7E5C030A
.long 0x7E5E030B
.long 0xE07C1000, 0x8003280D
.long 0xE07C1010, 0x80032C0D
	;; [unrolled: 1-line block ×30, first 2 shown]
.long 0xBEC41E3A
.long 0x7E800304
.long 0x7E820305
.long 0x7E840306
.long 0x7E860307
.long 0x7E880308
.long 0x7E8A0309
.long 0x7E8C030A
.long 0x7E8E030B
.long 0xE07C1000, 0x80034030
.long 0xE07C1010, 0x80034430
.long 0xBF800000
.long 0x7E6602FF, 0x80000000
.long 0xD1196A01, 0x00010301
	;; [unrolled: 1-line block ×6, first 2 shown]
.long 0x86CA4A46
.long 0xD1FE000D, 0x020A0102
.long 0xD100000D, 0x012A1B33
	;; [unrolled: 1-line block ×6, first 2 shown]
.long 0x241C1C82
.long 0xD100000E, 0x012A1D33
.long 0xD9FE0000, 0x1800000E
	;; [unrolled: 1-line block ×3, first 2 shown]
.long 0x241E0082
.long 0xE05C1000, 0x800F200F
.long 0xE05C1010, 0x800F240F
	;; [unrolled: 1-line block ×9, first 2 shown]
.long 0x86CA4A46
.long 0xD1FE0030, 0x020A0102
.long 0xD1000030, 0x012A6133
	;; [unrolled: 1-line block ×6, first 2 shown]
.long 0x24626282
.long 0xD1000031, 0x012A6333
.long 0x24640082
.long 0xD1FE0030, 0x020A0103
.long 0xD1000030, 0x012A6133
.long 0x7E5003AE
.long 0x7E5203B2
	;; [unrolled: 1-line block ×34, first 2 shown]
.long 0xD0CC0030, 0x0001003E
.long 0xD1000020, 0x00C240F2
	;; [unrolled: 1-line block ×28, first 2 shown]
.long 0xBEC41E3A
.long 0x7E500304
	;; [unrolled: 1-line block ×9, first 2 shown]
.long 0xE07C1000, 0x8003280D
.long 0xE07C1010, 0x80032C0D
	;; [unrolled: 1-line block ×30, first 2 shown]
.long 0xBEC41E3A
.long 0x7E800304
	;; [unrolled: 1-line block ×9, first 2 shown]
.long 0xE07C1000, 0x80034030
.long 0xE07C1010, 0x80034430
.long 0xBF800000
.long 0x7E6602FF, 0x80000000
.long 0xD1196A01, 0x00013B01
.long 0x92469D22
.long 0xD1340002, 0x00008D02
.long 0x92469D20
.long 0xD1340003, 0x00008D03
.long 0xD0C90046, 0x00002900
	;; [unrolled: 1-line block ×3, first 2 shown]
.long 0x86CA4A46
.long 0xD1FE000D, 0x020A0102
.long 0xD100000D, 0x012A1B33
.long 0xE05C1000, 0x8004100D
.long 0xE05C1010, 0x8004140D
.long 0x924602FF, 0x00000100
.long 0xD135000E, 0x00008D00
.long 0x241C1C82
.long 0xD100000E, 0x012A1D33
.long 0xD9FE0000, 0x1800000E
	;; [unrolled: 1-line block ×3, first 2 shown]
.long 0x241E0082
.long 0xE05C1000, 0x800F200F
.long 0xE05C1010, 0x800F240F
	;; [unrolled: 1-line block ×9, first 2 shown]
.long 0x86CA4A46
.long 0xD1FE0030, 0x020A0102
.long 0xD1000030, 0x012A6133
	;; [unrolled: 1-line block ×6, first 2 shown]
.long 0x24626282
.long 0xD1000031, 0x012A6333
.long 0x24640082
.long 0xD1FE0030, 0x020A0103
.long 0xD1000030, 0x012A6133
.long 0x7E5003CC
.long 0x7E5203D0
.long 0x7E5403D4
.long 0x7E5603D8
.long 0x7E5803DC
.long 0x7E5A03E0
.long 0x7E5C03E4
.long 0x7E5E03E8
.long 0x7E8003CD
.long 0x7E8203D1
.long 0x7E8403D5
.long 0x7E8603D9
.long 0x7E8803DD
.long 0x7E8A03E1
.long 0x7E8C03E5
.long 0x7E8E03E9
.long 0xBF800001
.long 0x0A505028
.long 0x0A525228
.long 0x0A545428
.long 0x0A565628
.long 0x0A585828
.long 0x0A5A5A28
.long 0x0A5C5C28
.long 0x0A5E5E28
.long 0x0A808028
.long 0x0A828228
.long 0x0A848428
.long 0x0A868628
.long 0x0A888828
.long 0x0A8A8A28
.long 0x0A8C8C28
.long 0x0A8E8E28
.long 0xBF8C0000
.long 0xD0CC0030, 0x0001003E
.long 0xD1000020, 0x00C240F2
	;; [unrolled: 1-line block ×28, first 2 shown]
.long 0xBEC41E3A
.long 0x7E500304
	;; [unrolled: 1-line block ×9, first 2 shown]
.long 0xE07C1000, 0x8003280D
.long 0xE07C1010, 0x80032C0D
	;; [unrolled: 1-line block ×30, first 2 shown]
.long 0xBEC41E3A
.long 0x7E800304
	;; [unrolled: 1-line block ×9, first 2 shown]
.long 0xE07C1000, 0x80034030
.long 0xE07C1010, 0x80034430
.long 0xBF800000
.long 0x7E6602FF, 0x80000000
.long 0xD1196A01, 0x00010301
	;; [unrolled: 1-line block ×6, first 2 shown]
.long 0x86CA4A46
.long 0xD1FE000D, 0x020A0102
.long 0xD100000D, 0x012A1B33
	;; [unrolled: 1-line block ×6, first 2 shown]
.long 0x241C1C82
.long 0xD100000E, 0x012A1D33
.long 0xD9FE0000, 0x1800000E
	;; [unrolled: 1-line block ×3, first 2 shown]
.long 0x241E0082
.long 0xE05C1000, 0x800F200F
.long 0xE05C1010, 0x800F240F
	;; [unrolled: 1-line block ×9, first 2 shown]
.long 0x86CA4A46
.long 0xD1FE0030, 0x020A0102
.long 0xD1000030, 0x012A6133
	;; [unrolled: 1-line block ×6, first 2 shown]
.long 0x24626282
.long 0xD1000031, 0x012A6333
.long 0x24640082
.long 0xD1FE0030, 0x020A0103
.long 0xD1000030, 0x012A6133
.long 0x7E5003CE
.long 0x7E5203D2
	;; [unrolled: 1-line block ×34, first 2 shown]
.long 0xD0CC0030, 0x0001003E
.long 0xD1000020, 0x00C240F2
	;; [unrolled: 1-line block ×28, first 2 shown]
.long 0xBEC41E3A
.long 0x7E500304
	;; [unrolled: 1-line block ×9, first 2 shown]
.long 0xE07C1000, 0x8003280D
.long 0xE07C1010, 0x80032C0D
	;; [unrolled: 1-line block ×30, first 2 shown]
.long 0xBEC41E3A
.long 0x7E800304
	;; [unrolled: 1-line block ×9, first 2 shown]
.long 0xE07C1000, 0x80034030
.long 0xE07C1010, 0x80034430
.long 0xBF800000
.long 0xBF820201
	;; [unrolled: 1-line block ×3, first 2 shown]
.long 0x260808FF, 0x7FFFFFFF
.long 0x260A0AFF, 0x7FFFFFFF
	;; [unrolled: 1-line block ×8, first 2 shown]
.long 0xBE801D44
.long 0xD044006A, 0x00006D04
.long 0x14080837
.long 0x00080880
.long 0xD044006A, 0x00006D05
.long 0x140A0A37
	;; [unrolled: 3-line block ×8, first 2 shown]
.long 0x00161680
.long 0xBE801D44
.long 0x0A1808FF, 0x3D372713
.long 0xD1CB000C, 0x03CA1904
.long 0x0A181904
.long 0x0A1818FF, 0x40135761
.long 0x7E18410C
.long 0xBF800000
.long 0x021818F2
.long 0x7E18450C
.long 0xBF800000
.long 0xD1CB000C, 0x03D218F5
.long 0x0A181904
.long 0x0A0818F0
.long 0x0A180AFF, 0x3D372713
.long 0xD1CB000C, 0x03CA1905
.long 0x0A181905
.long 0x0A1818FF, 0x40135761
.long 0x7E18410C
.long 0xBF800000
.long 0x021818F2
.long 0x7E18450C
.long 0xBF800000
.long 0xD1CB000C, 0x03D218F5
	;; [unrolled: 12-line block ×8, first 2 shown]
.long 0x0A18190B
.long 0x0A1618F0
	;; [unrolled: 1-line block ×4, first 2 shown]
.long 0xD046006A, 0x00010104
.long 0x0008090C
.long 0x0A180A36
.long 0xD046006A, 0x00010105
.long 0x000A0B0C
.long 0x0A180C36
	;; [unrolled: 3-line block ×8, first 2 shown]
.long 0xD10B0004, 0x00010104
.long 0xD10B0005, 0x00010105
.long 0xD10B0006, 0x00010106
.long 0xD10B0007, 0x00010107
.long 0xD10B0008, 0x00010108
.long 0xD10B0009, 0x00010109
.long 0xD10B000A, 0x0001010A
.long 0xD10B000B, 0x0001010B
.long 0xBE801D44
.long 0x0A0808FF, 0xBFB8AA3B
.long 0x7E084104
.long 0xBF800000
.long 0x020808F2
.long 0x7E084504
.long 0xBF800000
.long 0x0A0A0AFF, 0xBFB8AA3B
.long 0x7E0A4105
.long 0xBF800000
.long 0x020A0AF2
.long 0x7E0A4505
	;; [unrolled: 6-line block ×8, first 2 shown]
.long 0xBF800000
.long 0xBE801D44
	;; [unrolled: 1-line block ×3, first 2 shown]
.long 0x0A0808FF, 0x4038AA3B
.long 0x7E084104
.long 0xBF800000
.long 0x020808F2
.long 0x7E084504
.long 0xBF800000
.long 0xD1CB0004, 0x03CA08F5
.long 0x0A080837
.long 0x0A0A0A36
.long 0x0A0A0AFF, 0x4038AA3B
.long 0x7E0A4105
.long 0xBF800000
.long 0x020A0AF2
.long 0x7E0A4505
.long 0xBF800000
.long 0xD1CB0005, 0x03CA0AF5
.long 0x0A0A0A37
.long 0x0A0C0C36
	;; [unrolled: 9-line block ×8, first 2 shown]
.long 0x0A1808FF, 0x3D372713
.long 0xD1CB000C, 0x03CA1904
.long 0x0A181904
.long 0x0A1818FF, 0x40135761
.long 0x7E18410C
.long 0xBF800000
.long 0x021818F2
.long 0x7E18450C
.long 0xBF800000
.long 0xD1CB000C, 0x03D218F5
.long 0x0A181904
.long 0x0A1818F0
.long 0x0A081836
.long 0x0A180AFF, 0x3D372713
.long 0xD1CB000C, 0x03CA1905
.long 0x0A181905
.long 0x0A1818FF, 0x40135761
.long 0x7E18410C
.long 0xBF800000
.long 0x021818F2
.long 0x7E18450C
.long 0xBF800000
.long 0xD1CB000C, 0x03D218F5
.long 0x0A181905
.long 0x0A1818F0
.long 0x0A0A1836
	;; [unrolled: 13-line block ×8, first 2 shown]
.long 0xBE801D44
.long 0xBF810000
